;; amdgpu-corpus repo=ROCm/rocFFT kind=compiled arch=gfx906 opt=O3
	.text
	.amdgcn_target "amdgcn-amd-amdhsa--gfx906"
	.amdhsa_code_object_version 6
	.protected	bluestein_single_back_len1176_dim1_dp_op_CI_CI ; -- Begin function bluestein_single_back_len1176_dim1_dp_op_CI_CI
	.globl	bluestein_single_back_len1176_dim1_dp_op_CI_CI
	.p2align	8
	.type	bluestein_single_back_len1176_dim1_dp_op_CI_CI,@function
bluestein_single_back_len1176_dim1_dp_op_CI_CI: ; @bluestein_single_back_len1176_dim1_dp_op_CI_CI
; %bb.0:
	s_load_dwordx4 s[12:15], s[4:5], 0x28
	s_mov_b64 s[38:39], s[2:3]
	v_mul_u32_u24_e32 v1, 0x493, v0
	s_mov_b64 s[36:37], s[0:1]
	v_add_u32_sdwa v4, s6, v1 dst_sel:DWORD dst_unused:UNUSED_PAD src0_sel:DWORD src1_sel:WORD_1
	v_mov_b32_e32 v5, 0
	s_add_u32 s36, s36, s7
	s_waitcnt lgkmcnt(0)
	v_cmp_gt_u64_e32 vcc, s[12:13], v[4:5]
	s_addc_u32 s37, s37, 0
	s_and_saveexec_b64 s[0:1], vcc
	s_cbranch_execz .LBB0_31
; %bb.1:
	s_load_dwordx4 s[0:3], s[4:5], 0x18
	s_load_dwordx2 s[12:13], s[4:5], 0x0
	v_mov_b32_e32 v2, 56
	v_mul_lo_u16_sdwa v1, v1, v2 dst_sel:DWORD dst_unused:UNUSED_PAD src0_sel:WORD_1 src1_sel:DWORD
	v_sub_u16_e32 v139, v0, v1
	s_waitcnt lgkmcnt(0)
	s_load_dwordx4 s[8:11], s[0:1], 0x0
	v_mov_b32_e32 v5, v4
	buffer_store_dword v5, off, s[36:39], 0 offset:28 ; 4-byte Folded Spill
	s_nop 0
	buffer_store_dword v6, off, s[36:39], 0 offset:32 ; 4-byte Folded Spill
	v_lshlrev_b32_e32 v116, 4, v139
	v_or_b32_e32 v82, 0x1c0, v139
	s_waitcnt lgkmcnt(0)
	v_mad_u64_u32 v[0:1], s[0:1], s10, v4, 0
	v_mad_u64_u32 v[2:3], s[0:1], s8, v139, 0
	;; [unrolled: 1-line block ×4, first 2 shown]
	v_mov_b32_e32 v1, v4
	v_lshlrev_b64 v[0:1], 4, v[0:1]
	v_mov_b32_e32 v6, s15
	v_mov_b32_e32 v3, v5
	v_add_co_u32_e32 v16, vcc, s14, v0
	v_addc_co_u32_e32 v17, vcc, v6, v1, vcc
	v_lshlrev_b64 v[0:1], 4, v[2:3]
	s_mul_i32 s0, s9, 0x24c
	v_add_co_u32_e32 v8, vcc, v16, v0
	v_addc_co_u32_e32 v9, vcc, v17, v1, vcc
	s_mul_hi_u32 s1, s8, 0x24c
	v_mov_b32_e32 v0, s13
	v_add_co_u32_e32 v78, vcc, s12, v116
	s_add_i32 s1, s1, s0
	s_mul_i32 s0, s8, 0x24c
	v_addc_co_u32_e32 v79, vcc, 0, v0, vcc
	s_lshl_b64 s[14:15], s[0:1], 4
	v_mov_b32_e32 v19, s15
	v_add_co_u32_e32 v10, vcc, s14, v8
	v_addc_co_u32_e32 v11, vcc, v9, v19, vcc
	s_movk_i32 s0, 0x2000
	s_mul_hi_u32 s1, s8, 0xfffffdec
	v_add_co_u32_e32 v20, vcc, s0, v78
	s_mul_i32 s0, s9, 0xfffffdec
	s_sub_i32 s1, s1, s8
	s_add_i32 s1, s1, s0
	s_mul_i32 s0, s8, 0xfffffdec
	v_addc_co_u32_e32 v21, vcc, 0, v79, vcc
	s_lshl_b64 s[16:17], s[0:1], 4
	v_mov_b32_e32 v18, s17
	v_add_co_u32_e32 v12, vcc, s16, v10
	v_addc_co_u32_e32 v13, vcc, v11, v18, vcc
	global_load_dwordx4 v[0:3], v[8:9], off
	global_load_dwordx4 v[4:7], v[10:11], off
	global_load_dwordx4 v[104:107], v[20:21], off offset:1216
	s_nop 0
	global_load_dwordx4 v[8:11], v[12:13], off
	global_load_dwordx4 v[172:175], v116, s[12:13]
	global_load_dwordx4 v[148:151], v116, s[12:13] offset:896
	v_add_co_u32_e32 v22, vcc, s14, v12
	v_addc_co_u32_e32 v23, vcc, v13, v19, vcc
	global_load_dwordx4 v[140:143], v[20:21], off offset:2112
	global_load_dwordx4 v[12:15], v[22:23], off
	global_load_dwordx4 v[100:103], v116, s[12:13] offset:1792
	global_load_dwordx4 v[117:120], v116, s[12:13] offset:2688
	global_load_dwordx4 v[133:136], v[20:21], off offset:3008
	global_load_dwordx4 v[112:115], v[20:21], off offset:3904
	v_add_co_u32_e32 v24, vcc, s16, v22
	v_addc_co_u32_e32 v25, vcc, v23, v18, vcc
	v_add_co_u32_e32 v27, vcc, s14, v24
	v_addc_co_u32_e32 v28, vcc, v25, v19, vcc
	;; [unrolled: 2-line block ×6, first 2 shown]
	s_movk_i32 s0, 0x3000
	v_add_co_u32_e32 v68, vcc, s0, v78
	v_addc_co_u32_e32 v69, vcc, 0, v79, vcc
	v_add_co_u32_e32 v48, vcc, s16, v44
	v_addc_co_u32_e32 v49, vcc, v45, v18, vcc
	s_movk_i32 s0, 0x1000
	v_add_co_u32_e32 v80, vcc, s0, v78
	v_addc_co_u32_e32 v81, vcc, 0, v79, vcc
	v_add_co_u32_e32 v52, vcc, s14, v48
	v_addc_co_u32_e32 v53, vcc, v49, v19, vcc
	v_add_co_u32_e32 v56, vcc, s16, v52
	v_addc_co_u32_e32 v57, vcc, v53, v18, vcc
	v_add_co_u32_e32 v60, vcc, s14, v56
	v_mad_u64_u32 v[70:71], s[0:1], s8, v82, 0
	v_addc_co_u32_e32 v61, vcc, v57, v19, vcc
	v_add_co_u32_e32 v64, vcc, s16, v60
	v_addc_co_u32_e32 v65, vcc, v61, v18, vcc
	global_load_dwordx4 v[20:23], v[24:25], off
	global_load_dwordx4 v[129:132], v116, s[12:13] offset:3584
	v_add_co_u32_e32 v72, vcc, s14, v64
	global_load_dwordx4 v[24:27], v[27:28], off
	v_addc_co_u32_e32 v73, vcc, v65, v19, vcc
	global_load_dwordx4 v[28:31], v[31:32], off
	s_waitcnt vmcnt(11)
	v_mul_f64 v[84:85], v[2:3], v[174:175]
	global_load_dwordx4 v[32:35], v[35:36], off
	v_mul_f64 v[88:89], v[6:7], v[106:107]
	global_load_dwordx4 v[36:39], v[40:41], off
	s_waitcnt vmcnt(12)
	v_mul_f64 v[92:93], v[10:11], v[150:151]
	global_load_dwordx4 v[40:43], v[44:45], off
	s_waitcnt vmcnt(11)
	v_mul_f64 v[96:97], v[14:15], v[142:143]
	global_load_dwordx4 v[44:47], v[48:49], off
	s_nop 0
	global_load_dwordx4 v[48:51], v[52:53], off
	global_load_dwordx4 v[168:171], v[68:69], off offset:704
	global_load_dwordx4 v[160:163], v[68:69], off offset:1600
	s_nop 0
	global_load_dwordx4 v[52:55], v[56:57], off
	global_load_dwordx4 v[180:183], v[80:81], off offset:384
	global_load_dwordx4 v[121:124], v[80:81], off offset:1280
	v_mul_f64 v[86:87], v[0:1], v[174:175]
	global_load_dwordx4 v[56:59], v[60:61], off
	s_nop 0
	global_load_dwordx4 v[60:63], v[64:65], off
	global_load_dwordx4 v[144:147], v[80:81], off offset:2176
	v_mov_b32_e32 v64, v71
	v_mad_u64_u32 v[74:75], s[0:1], s9, v82, v[64:65]
	global_load_dwordx4 v[64:67], v[72:73], off
	global_load_dwordx4 v[176:179], v[68:69], off offset:2496
	global_load_dwordx4 v[164:167], v[68:69], off offset:3392
	v_fma_f64 v[0:1], v[0:1], v[172:173], v[84:85]
	v_mov_b32_e32 v71, v74
	v_lshlrev_b64 v[68:69], 4, v[70:71]
	buffer_store_dword v82, off, s[36:39], 0 offset:36 ; 4-byte Folded Spill
	v_add_co_u32_e32 v16, vcc, v16, v68
	v_mov_b32_e32 v68, 0x380
	v_mad_u64_u32 v[76:77], s[0:1], s8, v68, v[72:73]
	s_mul_i32 s0, s9, 0x380
	v_addc_co_u32_e32 v17, vcc, v17, v69, vcc
	v_add_u32_e32 v77, s0, v77
	s_movk_i32 s0, 0x4000
	global_load_dwordx4 v[68:71], v[16:17], off
	v_lshlrev_b32_e32 v82, 4, v82
	v_add_co_u32_e32 v16, vcc, s0, v78
	buffer_store_dword v78, off, s[36:39], 0 offset:20 ; 4-byte Folded Spill
	buffer_store_dword v79, off, s[36:39], 0 offset:24 ; 4-byte Folded Spill
	v_addc_co_u32_e32 v17, vcc, 0, v79, vcc
	buffer_store_dword v82, off, s[36:39], 0 offset:424 ; 4-byte Folded Spill
	global_load_dwordx4 v[72:75], v[76:77], off
	global_load_dwordx4 v[152:155], v82, s[12:13]
	global_load_dwordx4 v[108:111], v[16:17], off offset:192
	v_add_co_u32_e32 v82, vcc, s16, v76
	v_addc_co_u32_e32 v83, vcc, v77, v18, vcc
	v_add_co_u32_e32 v18, vcc, s14, v82
	v_addc_co_u32_e32 v19, vcc, v83, v19, vcc
	global_load_dwordx4 v[76:79], v[82:83], off
	global_load_dwordx4 v[125:128], v[80:81], off offset:3968
	s_nop 0
	global_load_dwordx4 v[80:83], v[18:19], off
	global_load_dwordx4 v[156:159], v[16:17], off offset:1088
	s_nop 0
	buffer_store_dword v172, off, s[36:39], 0 offset:316 ; 4-byte Folded Spill
	s_nop 0
	buffer_store_dword v173, off, s[36:39], 0 offset:320 ; 4-byte Folded Spill
	buffer_store_dword v174, off, s[36:39], 0 offset:324 ; 4-byte Folded Spill
	buffer_store_dword v175, off, s[36:39], 0 offset:328 ; 4-byte Folded Spill
	v_mul_f64 v[90:91], v[4:5], v[106:107]
	v_fma_f64 v[4:5], v[4:5], v[104:105], v[88:89]
	buffer_store_dword v104, off, s[36:39], 0 offset:60 ; 4-byte Folded Spill
	s_nop 0
	buffer_store_dword v105, off, s[36:39], 0 offset:64 ; 4-byte Folded Spill
	buffer_store_dword v106, off, s[36:39], 0 offset:68 ; 4-byte Folded Spill
	buffer_store_dword v107, off, s[36:39], 0 offset:72 ; 4-byte Folded Spill
	v_mul_f64 v[94:95], v[8:9], v[150:151]
	v_fma_f64 v[8:9], v[8:9], v[148:149], v[92:93]
	;; [unrolled: 7-line block ×3, first 2 shown]
	buffer_store_dword v140, off, s[36:39], 0 offset:188 ; 4-byte Folded Spill
	s_nop 0
	buffer_store_dword v141, off, s[36:39], 0 offset:192 ; 4-byte Folded Spill
	buffer_store_dword v142, off, s[36:39], 0 offset:196 ; 4-byte Folded Spill
	;; [unrolled: 1-line block ×3, first 2 shown]
	s_load_dwordx2 s[6:7], s[4:5], 0x38
	s_load_dwordx4 s[8:11], s[2:3], 0x0
	v_cmp_gt_u16_e64 s[0:1], 28, v139
	v_fma_f64 v[2:3], v[2:3], v[172:173], -v[86:87]
	v_fma_f64 v[6:7], v[6:7], v[104:105], -v[90:91]
	;; [unrolled: 1-line block ×4, first 2 shown]
	ds_write_b128 v116, v[0:3]
	ds_write_b128 v116, v[4:7] offset:9408
	ds_write_b128 v116, v[8:11] offset:896
	;; [unrolled: 1-line block ×3, first 2 shown]
	s_waitcnt vmcnt(47)
	v_mul_f64 v[0:1], v[22:23], v[102:103]
	s_waitcnt vmcnt(45)
	v_mul_f64 v[4:5], v[26:27], v[135:136]
	;; [unrolled: 2-line block ×4, first 2 shown]
	v_mul_f64 v[2:3], v[20:21], v[102:103]
	v_mul_f64 v[6:7], v[24:25], v[135:136]
	;; [unrolled: 1-line block ×4, first 2 shown]
	v_fma_f64 v[0:1], v[20:21], v[100:101], v[0:1]
	buffer_store_dword v100, off, s[36:39], 0 offset:44 ; 4-byte Folded Spill
	s_nop 0
	buffer_store_dword v101, off, s[36:39], 0 offset:48 ; 4-byte Folded Spill
	buffer_store_dword v102, off, s[36:39], 0 offset:52 ; 4-byte Folded Spill
	buffer_store_dword v103, off, s[36:39], 0 offset:56 ; 4-byte Folded Spill
	v_fma_f64 v[4:5], v[24:25], v[133:134], v[4:5]
	buffer_store_dword v133, off, s[36:39], 0 offset:172 ; 4-byte Folded Spill
	s_nop 0
	buffer_store_dword v134, off, s[36:39], 0 offset:176 ; 4-byte Folded Spill
	buffer_store_dword v135, off, s[36:39], 0 offset:180 ; 4-byte Folded Spill
	buffer_store_dword v136, off, s[36:39], 0 offset:184 ; 4-byte Folded Spill
	;; [unrolled: 6-line block ×4, first 2 shown]
	s_waitcnt vmcnt(58)
	v_mul_f64 v[20:21], v[38:39], v[131:132]
	s_waitcnt vmcnt(54)
	v_mul_f64 v[24:25], v[42:43], v[170:171]
	;; [unrolled: 2-line block ×3, first 2 shown]
	v_mul_f64 v[32:33], v[50:51], v[162:163]
	v_fma_f64 v[20:21], v[36:37], v[129:130], v[20:21]
	v_fma_f64 v[24:25], v[40:41], v[168:169], v[24:25]
	;; [unrolled: 1-line block ×4, first 2 shown]
	v_fma_f64 v[2:3], v[22:23], v[100:101], -v[2:3]
	v_mul_f64 v[22:23], v[36:37], v[131:132]
	buffer_store_dword v129, off, s[36:39], 0 offset:156 ; 4-byte Folded Spill
	s_nop 0
	buffer_store_dword v130, off, s[36:39], 0 offset:160 ; 4-byte Folded Spill
	buffer_store_dword v131, off, s[36:39], 0 offset:164 ; 4-byte Folded Spill
	buffer_store_dword v132, off, s[36:39], 0 offset:168 ; 4-byte Folded Spill
	v_fma_f64 v[6:7], v[26:27], v[133:134], -v[6:7]
	v_mul_f64 v[26:27], v[40:41], v[170:171]
	buffer_store_dword v168, off, s[36:39], 0 offset:300 ; 4-byte Folded Spill
	s_nop 0
	buffer_store_dword v169, off, s[36:39], 0 offset:304 ; 4-byte Folded Spill
	buffer_store_dword v170, off, s[36:39], 0 offset:308 ; 4-byte Folded Spill
	buffer_store_dword v171, off, s[36:39], 0 offset:312 ; 4-byte Folded Spill
	;; [unrolled: 7-line block ×4, first 2 shown]
	v_fma_f64 v[22:23], v[38:39], v[129:130], -v[22:23]
	v_fma_f64 v[26:27], v[42:43], v[168:169], -v[26:27]
	;; [unrolled: 1-line block ×4, first 2 shown]
	ds_write_b128 v116, v[0:3] offset:1792
	ds_write_b128 v116, v[4:7] offset:11200
	;; [unrolled: 1-line block ×8, first 2 shown]
	s_waitcnt vmcnt(62)
	v_mul_f64 v[0:1], v[54:55], v[123:124]
	s_waitcnt vmcnt(61)
	v_mul_f64 v[4:5], v[58:59], v[178:179]
	v_mul_f64 v[8:9], v[62:63], v[146:147]
	s_waitcnt vmcnt(60)
	v_mul_f64 v[12:13], v[66:67], v[166:167]
	s_waitcnt vmcnt(53)
	;; [unrolled: 2-line block ×5, first 2 shown]
	v_mul_f64 v[32:33], v[82:83], v[158:159]
	v_mul_f64 v[2:3], v[52:53], v[123:124]
	v_fma_f64 v[0:1], v[52:53], v[121:122], v[0:1]
	buffer_store_dword v121, off, s[36:39], 0 offset:124 ; 4-byte Folded Spill
	s_nop 0
	buffer_store_dword v122, off, s[36:39], 0 offset:128 ; 4-byte Folded Spill
	buffer_store_dword v123, off, s[36:39], 0 offset:132 ; 4-byte Folded Spill
	buffer_store_dword v124, off, s[36:39], 0 offset:136 ; 4-byte Folded Spill
	v_mul_f64 v[6:7], v[56:57], v[178:179]
	v_fma_f64 v[4:5], v[56:57], v[176:177], v[4:5]
	buffer_store_dword v176, off, s[36:39], 0 offset:332 ; 4-byte Folded Spill
	s_nop 0
	buffer_store_dword v177, off, s[36:39], 0 offset:336 ; 4-byte Folded Spill
	buffer_store_dword v178, off, s[36:39], 0 offset:340 ; 4-byte Folded Spill
	buffer_store_dword v179, off, s[36:39], 0 offset:344 ; 4-byte Folded Spill
	;; [unrolled: 7-line block ×8, first 2 shown]
	v_fma_f64 v[2:3], v[54:55], v[121:122], -v[2:3]
	v_fma_f64 v[6:7], v[58:59], v[176:177], -v[6:7]
	;; [unrolled: 1-line block ×8, first 2 shown]
	ds_write_b128 v116, v[0:3] offset:5376
	ds_write_b128 v116, v[4:7] offset:14784
	;; [unrolled: 1-line block ×8, first 2 shown]
	s_and_saveexec_b64 s[2:3], s[0:1]
	s_cbranch_execz .LBB0_3
; %bb.2:
	buffer_load_dword v4, off, s[36:39], 0 offset:20 ; 4-byte Folded Reload
	buffer_load_dword v5, off, s[36:39], 0 offset:24 ; 4-byte Folded Reload
	v_mov_b32_e32 v0, s17
	v_add_co_u32_e32 v8, vcc, s16, v18
	v_addc_co_u32_e32 v9, vcc, v19, v0, vcc
	global_load_dwordx4 v[0:3], v[8:9], off
	v_mov_b32_e32 v10, s15
	s_waitcnt vmcnt(2)
	v_add_co_u32_e32 v4, vcc, 0x2000, v4
	s_waitcnt vmcnt(1)
	v_addc_co_u32_e32 v5, vcc, 0, v5, vcc
	global_load_dwordx4 v[4:7], v[4:5], off offset:768
	v_add_co_u32_e32 v18, vcc, s14, v8
	v_addc_co_u32_e32 v19, vcc, v9, v10, vcc
	global_load_dwordx4 v[8:11], v[16:17], off offset:1984
	global_load_dwordx4 v[12:15], v[18:19], off
	s_waitcnt vmcnt(2)
	v_mul_f64 v[16:17], v[2:3], v[6:7]
	v_mul_f64 v[6:7], v[0:1], v[6:7]
	s_waitcnt vmcnt(0)
	v_mul_f64 v[18:19], v[14:15], v[10:11]
	v_mul_f64 v[10:11], v[12:13], v[10:11]
	v_fma_f64 v[0:1], v[0:1], v[4:5], v[16:17]
	v_fma_f64 v[2:3], v[2:3], v[4:5], -v[6:7]
	v_fma_f64 v[4:5], v[12:13], v[8:9], v[18:19]
	v_fma_f64 v[6:7], v[14:15], v[8:9], -v[10:11]
	ds_write_b128 v116, v[0:3] offset:8960
	ds_write_b128 v116, v[4:7] offset:18368
.LBB0_3:
	s_or_b64 exec, exec, s[2:3]
	s_waitcnt lgkmcnt(0)
	; wave barrier
	s_waitcnt lgkmcnt(0)
	ds_read_b128 v[48:51], v116
	ds_read_b128 v[100:103], v116 offset:896
	ds_read_b128 v[56:59], v116 offset:9408
	;; [unrolled: 1-line block ×19, first 2 shown]
                                        ; implicit-def: $vgpr16_vgpr17
                                        ; implicit-def: $vgpr20_vgpr21
	s_and_saveexec_b64 s[2:3], s[0:1]
	s_cbranch_execz .LBB0_5
; %bb.4:
	ds_read_b128 v[16:19], v116 offset:8960
	ds_read_b128 v[20:23], v116 offset:18368
.LBB0_5:
	s_or_b64 exec, exec, s[2:3]
	s_waitcnt lgkmcnt(14)
	v_add_f64 v[52:53], v[100:101], -v[52:53]
	v_add_f64 v[56:57], v[48:49], -v[56:57]
	;; [unrolled: 1-line block ×4, first 2 shown]
	s_waitcnt lgkmcnt(13)
	v_add_f64 v[60:61], v[44:45], -v[104:105]
	v_add_f64 v[62:63], v[46:47], -v[106:107]
	s_waitcnt lgkmcnt(12)
	v_add_f64 v[40:41], v[84:85], -v[40:41]
	v_add_f64 v[42:43], v[86:87], -v[42:43]
	;; [unrolled: 3-line block ×5, first 2 shown]
	v_fma_f64 v[64:65], v[100:101], 2.0, -v[52:53]
	s_waitcnt lgkmcnt(4)
	v_add_f64 v[28:29], v[4:5], -v[28:29]
	v_add_f64 v[30:31], v[6:7], -v[30:31]
	s_waitcnt lgkmcnt(0)
	v_add_f64 v[100:101], v[12:13], -v[0:1]
	v_add_f64 v[0:1], v[16:17], -v[20:21]
	v_fma_f64 v[48:49], v[48:49], 2.0, -v[56:57]
	v_fma_f64 v[50:51], v[50:51], 2.0, -v[58:59]
	;; [unrolled: 1-line block ×3, first 2 shown]
	v_add_f64 v[24:25], v[8:9], -v[24:25]
	v_add_f64 v[26:27], v[10:11], -v[26:27]
	v_fma_f64 v[44:45], v[44:45], 2.0, -v[60:61]
	v_fma_f64 v[46:47], v[46:47], 2.0, -v[62:63]
	;; [unrolled: 1-line block ×4, first 2 shown]
	v_add_f64 v[102:103], v[14:15], -v[2:3]
	v_add_f64 v[2:3], v[18:19], -v[22:23]
	v_fma_f64 v[96:97], v[88:89], 2.0, -v[36:37]
	v_fma_f64 v[98:99], v[90:91], 2.0, -v[38:39]
	;; [unrolled: 1-line block ×6, first 2 shown]
	v_add_co_u32_e32 v69, vcc, 56, v139
	s_movk_i32 s2, 0x70
	v_fma_f64 v[4:5], v[4:5], 2.0, -v[28:29]
	v_fma_f64 v[6:7], v[6:7], 2.0, -v[30:31]
	;; [unrolled: 1-line block ×3, first 2 shown]
	v_lshlrev_b32_e32 v16, 5, v139
	v_add_co_u32_e32 v68, vcc, s2, v139
	s_movk_i32 s2, 0xa8
	s_waitcnt lgkmcnt(0)
	; wave barrier
	ds_write_b128 v16, v[48:51]
	buffer_store_dword v16, off, s[36:39], 0 offset:364 ; 4-byte Folded Spill
	ds_write_b128 v16, v[56:59] offset:16
	v_lshlrev_b32_e32 v16, 5, v69
	v_add_co_u32_e32 v73, vcc, s2, v139
	s_movk_i32 s2, 0xe0
	v_fma_f64 v[8:9], v[8:9], 2.0, -v[24:25]
	v_fma_f64 v[10:11], v[10:11], 2.0, -v[26:27]
	ds_write_b128 v16, v[64:67]
	buffer_store_dword v16, off, s[36:39], 0 offset:368 ; 4-byte Folded Spill
	ds_write_b128 v16, v[52:55] offset:16
	v_lshlrev_b32_e32 v16, 5, v68
	v_add_co_u32_e32 v72, vcc, s2, v139
	s_movk_i32 s2, 0x118
	ds_write_b128 v16, v[44:47]
	buffer_store_dword v16, off, s[36:39], 0 offset:372 ; 4-byte Folded Spill
	ds_write_b128 v16, v[60:63] offset:16
	v_lshlrev_b32_e32 v16, 5, v73
	v_add_co_u32_e32 v71, vcc, s2, v139
	s_movk_i32 s2, 0x150
	v_fma_f64 v[12:13], v[12:13], 2.0, -v[100:101]
	v_fma_f64 v[14:15], v[14:15], 2.0, -v[102:103]
	;; [unrolled: 1-line block ×3, first 2 shown]
	ds_write_b128 v16, v[84:87]
	buffer_store_dword v16, off, s[36:39], 0 offset:376 ; 4-byte Folded Spill
	ds_write_b128 v16, v[40:43] offset:16
	v_lshlrev_b32_e32 v16, 5, v72
	v_add_co_u32_e32 v70, vcc, s2, v139
	ds_write_b128 v16, v[96:99]
	buffer_store_dword v16, off, s[36:39], 0 offset:380 ; 4-byte Folded Spill
	ds_write_b128 v16, v[36:39] offset:16
	v_lshlrev_b32_e32 v16, 5, v71
	v_lshlrev_b32_e32 v79, 1, v139
	ds_write_b128 v16, v[92:95]
	buffer_store_dword v16, off, s[36:39], 0 offset:384 ; 4-byte Folded Spill
	ds_write_b128 v16, v[75:78] offset:16
	v_lshlrev_b32_e32 v16, 5, v70
	s_load_dwordx2 s[4:5], s[4:5], 0x8
	ds_write_b128 v16, v[80:83]
	buffer_store_dword v16, off, s[36:39], 0 offset:388 ; 4-byte Folded Spill
	ds_write_b128 v16, v[32:35] offset:16
	v_lshlrev_b32_e32 v16, 4, v79
	v_add_u32_e32 v76, 0x310, v79
	ds_write_b128 v16, v[4:7] offset:12544
	v_or_b32_e32 v4, 0x1c0, v139
	s_movk_i32 s2, 0x230
	v_lshlrev_b32_e32 v17, 4, v76
	v_lshlrev_b32_e32 v78, 1, v4
	;; [unrolled: 1-line block ×3, first 2 shown]
	v_add_u32_e32 v77, 0x3f0, v79
	v_add_co_u32_e32 v121, vcc, s2, v139
	ds_write_b128 v17, v[28:31] offset:16
	ds_write_b128 v4, v[8:11]
	buffer_store_dword v4, off, s[36:39], 0 offset:396 ; 4-byte Folded Spill
	ds_write_b128 v4, v[24:27] offset:16
	v_lshlrev_b32_e32 v4, 4, v77
	v_lshlrev_b32_e32 v120, 1, v69
	;; [unrolled: 1-line block ×7, first 2 shown]
	buffer_store_dword v4, off, s[36:39], 0 offset:400 ; 4-byte Folded Spill
	ds_write_b128 v4, v[100:103] offset:16
	v_lshlrev_b32_e32 v4, 5, v121
	buffer_store_dword v17, off, s[36:39], 0 offset:392 ; 4-byte Folded Spill
	ds_write_b128 v16, v[12:15] offset:16128
	buffer_store_dword v4, off, s[36:39], 0 offset:612 ; 4-byte Folded Spill
	s_and_saveexec_b64 s[2:3], s[0:1]
	s_cbranch_execz .LBB0_7
; %bb.6:
	v_lshlrev_b32_e32 v4, 5, v121
	ds_write_b128 v4, v[88:91]
	ds_write_b128 v4, v[0:3] offset:16
.LBB0_7:
	s_or_b64 exec, exec, s[2:3]
	s_waitcnt lgkmcnt(0)
	; wave barrier
	s_waitcnt lgkmcnt(0)
	ds_read_b128 v[40:43], v116
	ds_read_b128 v[36:39], v116 offset:896
	ds_read_b128 v[100:103], v116 offset:9408
	;; [unrolled: 1-line block ×19, first 2 shown]
	s_and_saveexec_b64 s[2:3], s[0:1]
	s_cbranch_execz .LBB0_9
; %bb.8:
	ds_read_b128 v[88:91], v116 offset:8960
	ds_read_b128 v[0:3], v116 offset:18368
.LBB0_9:
	s_or_b64 exec, exec, s[2:3]
	v_and_b32_e32 v138, 1, v139
	v_lshlrev_b32_e32 v80, 4, v138
	global_load_dwordx4 v[80:83], v80, s[4:5]
	s_movk_i32 s2, 0x7c
	s_waitcnt lgkmcnt(0)
	; wave barrier
	s_waitcnt lgkmcnt(0)
	s_movk_i32 s3, 0x2fc
	buffer_store_dword v138, off, s[36:39], 0 offset:604 ; 4-byte Folded Spill
	s_waitcnt vmcnt(1)
	v_mul_f64 v[104:105], v[102:103], v[82:83]
	v_fma_f64 v[104:105], v[100:101], v[80:81], -v[104:105]
	v_mul_f64 v[100:101], v[100:101], v[82:83]
	v_fma_f64 v[100:101], v[102:103], v[80:81], v[100:101]
	v_mul_f64 v[102:103], v[94:95], v[82:83]
	v_fma_f64 v[102:103], v[92:93], v[80:81], -v[102:103]
	v_mul_f64 v[92:93], v[92:93], v[82:83]
	v_fma_f64 v[92:93], v[94:95], v[80:81], v[92:93]
	;; [unrolled: 4-line block ×4, first 2 shown]
	v_mul_f64 v[66:67], v[86:87], v[82:83]
	v_fma_f64 v[66:67], v[84:85], v[80:81], -v[66:67]
	v_mul_f64 v[84:85], v[84:85], v[82:83]
	v_add_f64 v[108:109], v[24:25], -v[66:67]
	v_fma_f64 v[84:85], v[86:87], v[80:81], v[84:85]
	v_mul_f64 v[86:87], v[58:59], v[82:83]
	v_fma_f64 v[112:113], v[24:25], 2.0, -v[108:109]
	v_add_f64 v[110:111], v[26:27], -v[84:85]
	v_fma_f64 v[86:87], v[56:57], v[80:81], -v[86:87]
	v_mul_f64 v[56:57], v[56:57], v[82:83]
	v_and_or_b32 v24, v79, s2, v138
	v_lshlrev_b32_e32 v24, 4, v24
	s_movk_i32 s2, 0xfc
	buffer_store_dword v24, off, s[36:39], 0 offset:404 ; 4-byte Folded Spill
	v_fma_f64 v[114:115], v[26:27], 2.0, -v[110:111]
	v_fma_f64 v[106:107], v[58:59], v[80:81], v[56:57]
	v_mul_f64 v[56:57], v[62:63], v[82:83]
	v_add_f64 v[58:59], v[30:31], -v[64:65]
	v_fma_f64 v[122:123], v[60:61], v[80:81], -v[56:57]
	v_mul_f64 v[56:57], v[60:61], v[82:83]
	v_fma_f64 v[30:31], v[30:31], 2.0, -v[58:59]
	v_add_f64 v[84:85], v[16:17], -v[122:123]
	v_fma_f64 v[60:61], v[62:63], v[80:81], v[56:57]
	v_mul_f64 v[56:57], v[50:51], v[82:83]
	v_fma_f64 v[62:63], v[48:49], v[80:81], -v[56:57]
	v_mul_f64 v[48:49], v[48:49], v[82:83]
	v_add_f64 v[56:57], v[28:29], -v[98:99]
	v_fma_f64 v[124:125], v[50:51], v[80:81], v[48:49]
	v_mul_f64 v[48:49], v[54:55], v[82:83]
	v_add_f64 v[50:51], v[38:39], -v[92:93]
	v_fma_f64 v[28:29], v[28:29], 2.0, -v[56:57]
	v_fma_f64 v[126:127], v[52:53], v[80:81], -v[48:49]
	v_mul_f64 v[48:49], v[52:53], v[82:83]
	v_add_f64 v[52:53], v[32:33], -v[94:95]
	v_fma_f64 v[38:39], v[38:39], 2.0, -v[50:51]
	v_fma_f64 v[128:129], v[54:55], v[80:81], v[48:49]
	v_mul_f64 v[48:49], v[46:47], v[82:83]
	v_add_f64 v[54:55], v[34:35], -v[96:97]
	v_fma_f64 v[96:97], v[16:17], 2.0, -v[84:85]
	v_add_f64 v[16:17], v[8:9], -v[62:63]
	v_fma_f64 v[32:33], v[32:33], 2.0, -v[52:53]
	v_fma_f64 v[130:131], v[44:45], v[80:81], -v[48:49]
	v_mul_f64 v[44:45], v[44:45], v[82:83]
	v_add_f64 v[48:49], v[36:37], -v[102:103]
	v_add_f64 v[102:103], v[22:23], -v[106:107]
	v_fma_f64 v[34:35], v[34:35], 2.0, -v[54:55]
	v_fma_f64 v[132:133], v[46:47], v[80:81], v[44:45]
	v_mul_f64 v[44:45], v[2:3], v[82:83]
	v_add_f64 v[46:47], v[42:43], -v[100:101]
	v_add_f64 v[100:101], v[20:21], -v[86:87]
	;; [unrolled: 1-line block ×3, first 2 shown]
	v_fma_f64 v[36:37], v[36:37], 2.0, -v[48:49]
	v_fma_f64 v[106:107], v[22:23], 2.0, -v[102:103]
	v_fma_f64 v[134:135], v[0:1], v[80:81], -v[44:45]
	v_add_f64 v[44:45], v[40:41], -v[104:105]
	v_mul_f64 v[0:1], v[0:1], v[82:83]
	v_fma_f64 v[42:43], v[42:43], 2.0, -v[46:47]
	v_fma_f64 v[98:99], v[18:19], 2.0, -v[86:87]
	v_add_f64 v[18:19], v[10:11], -v[124:125]
	v_fma_f64 v[104:105], v[20:21], 2.0, -v[100:101]
	v_fma_f64 v[20:21], v[8:9], 2.0, -v[16:17]
	v_add_f64 v[8:9], v[12:13], -v[126:127]
	v_fma_f64 v[40:41], v[40:41], 2.0, -v[44:45]
	v_fma_f64 v[136:137], v[2:3], v[80:81], v[0:1]
	ds_write_b128 v24, v[44:47] offset:32
	v_add_f64 v[0:1], v[4:5], -v[130:131]
	v_fma_f64 v[22:23], v[10:11], 2.0, -v[18:19]
	v_add_f64 v[10:11], v[14:15], -v[128:129]
	v_add_f64 v[2:3], v[6:7], -v[132:133]
	;; [unrolled: 1-line block ×3, first 2 shown]
	ds_write_b128 v24, v[40:43]
	v_and_or_b32 v24, v120, s2, v138
	v_lshlrev_b32_e32 v24, 4, v24
	s_movk_i32 s2, 0x1fc
	ds_write_b128 v24, v[36:39]
	buffer_store_dword v24, off, s[36:39], 0 offset:408 ; 4-byte Folded Spill
	ds_write_b128 v24, v[48:51] offset:32
	v_and_or_b32 v24, v118, s2, v138
	v_add_f64 v[94:95], v[90:91], -v[136:137]
	v_lshlrev_b32_e32 v24, 4, v24
	ds_write_b128 v24, v[32:35]
	buffer_store_dword v24, off, s[36:39], 0 offset:416 ; 4-byte Folded Spill
	ds_write_b128 v24, v[52:55] offset:32
	v_and_or_b32 v24, v119, s2, v138
	v_lshlrev_b32_e32 v24, 4, v24
	s_movk_i32 s2, 0x3fc
	ds_write_b128 v24, v[28:31]
	buffer_store_dword v24, off, s[36:39], 0 offset:412 ; 4-byte Folded Spill
	ds_write_b128 v24, v[56:59] offset:32
	v_and_or_b32 v24, v117, s2, v138
	v_lshlrev_b32_e32 v24, 4, v24
	ds_write_b128 v24, v[112:115]
	buffer_store_dword v24, off, s[36:39], 0 offset:420 ; 4-byte Folded Spill
	ds_write_b128 v24, v[108:111] offset:32
	v_and_or_b32 v24, v74, s3, v138
	v_lshlrev_b32_e32 v24, 4, v24
	v_fma_f64 v[12:13], v[12:13], 2.0, -v[8:9]
	v_fma_f64 v[14:15], v[14:15], 2.0, -v[10:11]
	ds_write_b128 v24, v[104:107]
	buffer_store_dword v24, off, s[36:39], 0 offset:428 ; 4-byte Folded Spill
	ds_write_b128 v24, v[100:103] offset:32
	v_and_or_b32 v24, v75, s2, v138
	v_fma_f64 v[4:5], v[4:5], 2.0, -v[0:1]
	v_fma_f64 v[6:7], v[6:7], 2.0, -v[2:3]
	;; [unrolled: 1-line block ×4, first 2 shown]
	v_lshlrev_b32_e32 v24, 4, v24
	ds_write_b128 v24, v[96:99]
	buffer_store_dword v24, off, s[36:39], 0 offset:432 ; 4-byte Folded Spill
	ds_write_b128 v24, v[84:87] offset:32
	v_and_or_b32 v24, v76, s2, v138
	v_lshlrev_b32_e32 v24, 4, v24
	ds_write_b128 v24, v[16:19] offset:32
	v_and_or_b32 v16, v78, s2, v138
	v_lshlrev_b32_e32 v16, 4, v16
	s_movk_i32 s2, 0x7fc
	ds_write_b128 v24, v[20:23]
	ds_write_b128 v16, v[8:11] offset:32
	v_and_or_b32 v8, v77, s2, v138
	v_lshlrev_b32_e32 v8, 4, v8
	ds_write_b128 v16, v[12:15]
	ds_write_b128 v8, v[0:3] offset:32
	v_lshlrev_b32_e32 v0, 1, v121
	buffer_store_dword v24, off, s[36:39], 0 offset:436 ; 4-byte Folded Spill
	buffer_store_dword v16, off, s[36:39], 0 offset:440 ; 4-byte Folded Spill
	ds_write_b128 v8, v[4:7]
	buffer_store_dword v8, off, s[36:39], 0 offset:444 ; 4-byte Folded Spill
	buffer_store_dword v0, off, s[36:39], 0 ; 4-byte Folded Spill
	s_and_saveexec_b64 s[2:3], s[0:1]
	s_cbranch_execz .LBB0_11
; %bb.10:
	buffer_load_dword v1, off, s[36:39], 0  ; 4-byte Folded Reload
	s_movk_i32 s14, 0x4fc
	v_and_b32_e32 v0, 1, v139
	s_waitcnt vmcnt(0)
	v_and_or_b32 v0, v1, s14, v0
	v_lshlrev_b32_e32 v0, 4, v0
	ds_write_b128 v0, v[88:91]
	ds_write_b128 v0, v[92:95] offset:32
.LBB0_11:
	s_or_b64 exec, exec, s[2:3]
	s_waitcnt lgkmcnt(0)
	; wave barrier
	s_waitcnt lgkmcnt(0)
	ds_read_b128 v[36:39], v116
	ds_read_b128 v[32:35], v116 offset:896
	ds_read_b128 v[104:107], v116 offset:9408
	;; [unrolled: 1-line block ×19, first 2 shown]
	s_and_saveexec_b64 s[2:3], s[0:1]
	s_cbranch_execz .LBB0_13
; %bb.12:
	ds_read_b128 v[88:91], v116 offset:8960
	ds_read_b128 v[92:95], v116 offset:18368
.LBB0_13:
	s_or_b64 exec, exec, s[2:3]
	v_and_b32_e32 v140, 3, v139
	v_lshlrev_b32_e32 v84, 4, v140
	global_load_dwordx4 v[84:87], v84, s[4:5] offset:32
	s_movk_i32 s2, 0x78
	s_movk_i32 s3, 0x2f8
	s_waitcnt vmcnt(0) lgkmcnt(14)
	v_mul_f64 v[108:109], v[106:107], v[86:87]
	v_fma_f64 v[108:109], v[104:105], v[84:85], -v[108:109]
	v_mul_f64 v[104:105], v[104:105], v[86:87]
	v_fma_f64 v[104:105], v[106:107], v[84:85], v[104:105]
	v_mul_f64 v[106:107], v[98:99], v[86:87]
	v_fma_f64 v[106:107], v[96:97], v[84:85], -v[106:107]
	v_mul_f64 v[96:97], v[96:97], v[86:87]
	v_fma_f64 v[96:97], v[98:99], v[84:85], v[96:97]
	s_waitcnt lgkmcnt(13)
	v_mul_f64 v[98:99], v[102:103], v[86:87]
	v_fma_f64 v[98:99], v[100:101], v[84:85], -v[98:99]
	v_mul_f64 v[100:101], v[100:101], v[86:87]
	v_fma_f64 v[100:101], v[102:103], v[84:85], v[100:101]
	s_waitcnt lgkmcnt(12)
	;; [unrolled: 5-line block ×4, first 2 shown]
	v_mul_f64 v[66:67], v[54:55], v[86:87]
	v_add_f64 v[110:111], v[22:23], -v[64:65]
	v_fma_f64 v[66:67], v[52:53], v[84:85], -v[66:67]
	v_mul_f64 v[52:53], v[52:53], v[86:87]
	v_fma_f64 v[114:115], v[22:23], 2.0, -v[110:111]
	v_fma_f64 v[121:122], v[54:55], v[84:85], v[52:53]
	s_waitcnt lgkmcnt(5)
	v_mul_f64 v[52:53], v[58:59], v[86:87]
	v_add_f64 v[54:55], v[26:27], -v[60:61]
	v_fma_f64 v[123:124], v[56:57], v[84:85], -v[52:53]
	v_mul_f64 v[52:53], v[56:57], v[86:87]
	v_fma_f64 v[26:27], v[26:27], 2.0, -v[54:55]
	v_fma_f64 v[56:57], v[58:59], v[84:85], v[52:53]
	s_waitcnt lgkmcnt(4)
	v_mul_f64 v[52:53], v[46:47], v[86:87]
	v_fma_f64 v[58:59], v[44:45], v[84:85], -v[52:53]
	v_mul_f64 v[44:45], v[44:45], v[86:87]
	v_add_f64 v[52:53], v[24:25], -v[102:103]
	v_add_f64 v[102:103], v[18:19], -v[121:122]
	v_fma_f64 v[125:126], v[46:47], v[84:85], v[44:45]
	s_waitcnt lgkmcnt(1)
	v_mul_f64 v[44:45], v[50:51], v[86:87]
	v_add_f64 v[46:47], v[34:35], -v[96:97]
	v_fma_f64 v[24:25], v[24:25], 2.0, -v[52:53]
	v_fma_f64 v[127:128], v[48:49], v[84:85], -v[44:45]
	v_mul_f64 v[44:45], v[48:49], v[86:87]
	v_add_f64 v[48:49], v[28:29], -v[98:99]
	v_fma_f64 v[34:35], v[34:35], 2.0, -v[46:47]
	v_fma_f64 v[129:130], v[50:51], v[84:85], v[44:45]
	s_waitcnt lgkmcnt(0)
	v_mul_f64 v[44:45], v[42:43], v[86:87]
	v_add_f64 v[50:51], v[30:31], -v[100:101]
	v_add_f64 v[100:101], v[16:17], -v[66:67]
	v_fma_f64 v[28:29], v[28:29], 2.0, -v[48:49]
	v_fma_f64 v[131:132], v[40:41], v[84:85], -v[44:45]
	v_mul_f64 v[40:41], v[40:41], v[86:87]
	v_add_f64 v[44:45], v[32:33], -v[106:107]
	v_fma_f64 v[106:107], v[18:19], 2.0, -v[102:103]
	v_add_f64 v[18:19], v[10:11], -v[125:126]
	v_fma_f64 v[30:31], v[30:31], 2.0, -v[50:51]
	v_fma_f64 v[133:134], v[42:43], v[84:85], v[40:41]
	v_mul_f64 v[40:41], v[94:95], v[86:87]
	v_add_f64 v[42:43], v[38:39], -v[104:105]
	v_fma_f64 v[104:105], v[16:17], 2.0, -v[100:101]
	v_add_f64 v[16:17], v[8:9], -v[58:59]
	v_fma_f64 v[32:33], v[32:33], 2.0, -v[44:45]
	v_fma_f64 v[22:23], v[10:11], 2.0, -v[18:19]
	v_add_f64 v[10:11], v[2:3], -v[129:130]
	v_fma_f64 v[135:136], v[92:93], v[84:85], -v[40:41]
	v_mul_f64 v[40:41], v[92:93], v[86:87]
	v_fma_f64 v[38:39], v[38:39], 2.0, -v[42:43]
	v_add_f64 v[92:93], v[12:13], -v[123:124]
	v_fma_f64 v[137:138], v[94:95], v[84:85], v[40:41]
	v_add_f64 v[40:41], v[36:37], -v[108:109]
	v_add_f64 v[108:109], v[20:21], -v[62:63]
	;; [unrolled: 1-line block ×4, first 2 shown]
	v_fma_f64 v[96:97], v[12:13], 2.0, -v[92:93]
	v_add_f64 v[58:59], v[90:91], -v[137:138]
	v_fma_f64 v[36:37], v[36:37], 2.0, -v[40:41]
	v_fma_f64 v[112:113], v[20:21], 2.0, -v[108:109]
	;; [unrolled: 1-line block ×3, first 2 shown]
	v_add_f64 v[8:9], v[0:1], -v[127:128]
	buffer_store_dword v56, off, s[36:39], 0 offset:4 ; 4-byte Folded Spill
	s_nop 0
	buffer_store_dword v57, off, s[36:39], 0 offset:8 ; 4-byte Folded Spill
	buffer_store_dword v58, off, s[36:39], 0 offset:12 ; 4-byte Folded Spill
	;; [unrolled: 1-line block ×3, first 2 shown]
	v_and_or_b32 v56, v79, s2, v140
	v_lshlrev_b32_e32 v56, 4, v56
	s_movk_i32 s2, 0xf8
	s_waitcnt lgkmcnt(0)
	; wave barrier
	ds_write_b128 v56, v[36:39]
	v_and_or_b32 v36, v120, s2, v140
	v_lshlrev_b32_e32 v36, 4, v36
	s_movk_i32 s2, 0x1f8
	v_fma_f64 v[98:99], v[14:15], 2.0, -v[94:95]
	v_fma_f64 v[12:13], v[0:1], 2.0, -v[8:9]
	;; [unrolled: 1-line block ×3, first 2 shown]
	v_add_f64 v[0:1], v[4:5], -v[131:132]
	v_add_f64 v[2:3], v[6:7], -v[133:134]
	ds_write_b128 v56, v[40:43] offset:64
	ds_write_b128 v36, v[32:35]
	v_and_or_b32 v32, v118, s2, v140
	v_lshlrev_b32_e32 v32, 4, v32
	ds_write_b128 v36, v[44:47] offset:64
	ds_write_b128 v32, v[28:31]
	v_and_or_b32 v28, v119, s2, v140
	v_lshlrev_b32_e32 v28, 4, v28
	s_movk_i32 s2, 0x3f8
	ds_write_b128 v32, v[48:51] offset:64
	ds_write_b128 v28, v[24:27]
	v_and_or_b32 v24, v117, s2, v140
	v_lshlrev_b32_e32 v24, 4, v24
	ds_write_b128 v28, v[52:55] offset:64
	ds_write_b128 v24, v[112:115]
	buffer_store_dword v24, off, s[36:39], 0 offset:464 ; 4-byte Folded Spill
	ds_write_b128 v24, v[108:111] offset:64
	v_and_or_b32 v24, v74, s3, v140
	v_lshlrev_b32_e32 v24, 4, v24
	v_fma_f64 v[4:5], v[4:5], 2.0, -v[0:1]
	v_fma_f64 v[6:7], v[6:7], 2.0, -v[2:3]
	ds_write_b128 v24, v[104:107]
	buffer_store_dword v24, off, s[36:39], 0 offset:468 ; 4-byte Folded Spill
	ds_write_b128 v24, v[100:103] offset:64
	v_and_or_b32 v24, v75, s2, v140
	v_lshlrev_b32_e32 v24, 4, v24
	ds_write_b128 v24, v[96:99]
	buffer_store_dword v24, off, s[36:39], 0 offset:472 ; 4-byte Folded Spill
	ds_write_b128 v24, v[92:95] offset:64
	v_and_or_b32 v24, v76, s2, v140
	v_lshlrev_b32_e32 v24, 4, v24
	ds_write_b128 v24, v[16:19] offset:64
	v_and_or_b32 v16, v78, s2, v140
	v_lshlrev_b32_e32 v16, 4, v16
	s_movk_i32 s2, 0x7f8
	ds_write_b128 v24, v[20:23]
	ds_write_b128 v16, v[8:11] offset:64
	v_and_or_b32 v8, v77, s2, v140
	v_lshlrev_b32_e32 v8, 4, v8
	buffer_store_dword v56, off, s[36:39], 0 offset:448 ; 4-byte Folded Spill
	buffer_store_dword v36, off, s[36:39], 0 offset:452 ; 4-byte Folded Spill
	;; [unrolled: 1-line block ×5, first 2 shown]
	ds_write_b128 v16, v[12:15]
	buffer_store_dword v16, off, s[36:39], 0 offset:480 ; 4-byte Folded Spill
	buffer_store_dword v140, off, s[36:39], 0 offset:608 ; 4-byte Folded Spill
	ds_write_b128 v8, v[4:7]
	buffer_store_dword v8, off, s[36:39], 0 offset:484 ; 4-byte Folded Spill
	ds_write_b128 v8, v[0:3] offset:64
	s_and_saveexec_b64 s[2:3], s[0:1]
	s_cbranch_execz .LBB0_15
; %bb.14:
	buffer_load_dword v6, off, s[36:39], 0 offset:4 ; 4-byte Folded Reload
	buffer_load_dword v7, off, s[36:39], 0 offset:8 ; 4-byte Folded Reload
	;; [unrolled: 1-line block ×4, first 2 shown]
	buffer_load_dword v4, off, s[36:39], 0  ; 4-byte Folded Reload
	s_movk_i32 s14, 0x4f8
	v_and_b32_e32 v5, 3, v139
	s_waitcnt vmcnt(1)
	v_fma_f64 v[2:3], v[90:91], 2.0, -v[8:9]
	v_fma_f64 v[0:1], v[88:89], 2.0, -v[6:7]
	s_waitcnt vmcnt(0)
	v_and_or_b32 v4, v4, s14, v5
	v_lshlrev_b32_e32 v4, 4, v4
	ds_write_b128 v4, v[0:3]
	ds_write_b128 v4, v[6:9] offset:64
.LBB0_15:
	s_or_b64 exec, exec, s[2:3]
	v_and_b32_e32 v56, 7, v139
	v_lshlrev_b32_e32 v48, 5, v56
	s_waitcnt lgkmcnt(0)
	; wave barrier
	s_waitcnt lgkmcnt(0)
	ds_read_b128 v[16:19], v116
	ds_read_b128 v[4:7], v116 offset:6272
	ds_read_b128 v[20:23], v116 offset:12544
	;; [unrolled: 1-line block ×20, first 2 shown]
	global_load_dwordx4 v[88:91], v48, s[4:5] offset:112
	global_load_dwordx4 v[92:95], v48, s[4:5] offset:96
	s_add_u32 s2, s12, 0x4980
	s_addc_u32 s3, s13, 0
	s_mov_b32 s12, 0xe8584caa
	s_mov_b32 s13, 0x3febb67a
	;; [unrolled: 1-line block ×4, first 2 shown]
	s_waitcnt lgkmcnt(0)
	; wave barrier
	s_waitcnt lgkmcnt(0)
	s_movk_i32 s30, 0x60
	s_mov_b32 s28, 0x37e14327
	s_mov_b32 s16, 0xe976ee23
	;; [unrolled: 1-line block ×14, first 2 shown]
	s_waitcnt vmcnt(0)
	v_mul_f64 v[48:49], v[6:7], v[94:95]
	v_fma_f64 v[65:66], v[4:5], v[92:93], -v[48:49]
	v_mul_f64 v[4:5], v[4:5], v[94:95]
	v_fma_f64 v[78:79], v[6:7], v[92:93], v[4:5]
	v_mul_f64 v[4:5], v[22:23], v[90:91]
	v_fma_f64 v[121:122], v[20:21], v[88:89], -v[4:5]
	v_mul_f64 v[4:5], v[20:21], v[90:91]
	v_add_f64 v[6:7], v[65:66], v[121:122]
	v_fma_f64 v[22:23], v[22:23], v[88:89], v[4:5]
	v_mul_f64 v[4:5], v[26:27], v[94:95]
	v_fma_f64 v[6:7], v[6:7], -0.5, v[16:17]
	v_add_f64 v[20:21], v[78:79], -v[22:23]
	v_fma_f64 v[123:124], v[24:25], v[92:93], -v[4:5]
	v_mul_f64 v[4:5], v[24:25], v[94:95]
	v_fma_f64 v[125:126], v[26:27], v[92:93], v[4:5]
	v_mul_f64 v[4:5], v[30:31], v[90:91]
	v_fma_f64 v[127:128], v[28:29], v[88:89], -v[4:5]
	v_mul_f64 v[4:5], v[28:29], v[90:91]
	v_fma_f64 v[129:130], v[30:31], v[88:89], v[4:5]
	v_mul_f64 v[4:5], v[34:35], v[94:95]
	;; [unrolled: 4-line block ×6, first 2 shown]
	v_fma_f64 v[40:41], v[57:58], v[92:93], -v[4:5]
	v_mul_f64 v[4:5], v[57:58], v[94:95]
	v_add_f64 v[57:58], v[65:66], -v[121:122]
	v_fma_f64 v[42:43], v[59:60], v[92:93], v[4:5]
	v_mul_f64 v[4:5], v[63:64], v[90:91]
	v_add_f64 v[59:60], v[123:124], v[127:128]
	v_fma_f64 v[44:45], v[61:62], v[88:89], -v[4:5]
	v_mul_f64 v[4:5], v[61:62], v[90:91]
	v_fma_f64 v[59:60], v[59:60], -0.5, v[12:13]
	v_add_f64 v[61:62], v[125:126], -v[129:130]
	v_fma_f64 v[46:47], v[63:64], v[88:89], v[4:5]
	v_mul_f64 v[4:5], v[76:77], v[94:95]
	v_add_f64 v[63:64], v[125:126], v[129:130]
	v_fma_f64 v[32:33], v[74:75], v[92:93], -v[4:5]
	v_mul_f64 v[4:5], v[74:75], v[94:95]
	v_fma_f64 v[63:64], v[63:64], -0.5, v[14:15]
	v_fma_f64 v[34:35], v[76:77], v[92:93], v[4:5]
	v_mul_f64 v[4:5], v[110:111], v[90:91]
	v_add_f64 v[76:77], v[133:134], -v[137:138]
	v_fma_f64 v[36:37], v[108:109], v[88:89], -v[4:5]
	v_mul_f64 v[4:5], v[108:109], v[90:91]
	v_fma_f64 v[38:39], v[110:111], v[88:89], v[4:5]
	v_mul_f64 v[4:5], v[114:115], v[94:95]
	v_fma_f64 v[24:25], v[112:113], v[92:93], -v[4:5]
	v_mul_f64 v[4:5], v[112:113], v[94:95]
	v_fma_f64 v[28:29], v[114:115], v[92:93], v[4:5]
	v_mul_f64 v[4:5], v[119:120], v[90:91]
	v_fma_f64 v[26:27], v[117:118], v[88:89], -v[4:5]
	v_mul_f64 v[4:5], v[117:118], v[90:91]
	v_fma_f64 v[30:31], v[119:120], v[88:89], v[4:5]
	v_add_f64 v[4:5], v[16:17], v[65:66]
	v_fma_f64 v[16:17], v[20:21], s[12:13], v[6:7]
	v_fma_f64 v[20:21], v[20:21], s[14:15], v[6:7]
	v_add_f64 v[6:7], v[18:19], v[78:79]
	v_add_f64 v[65:66], v[123:124], -v[127:128]
	v_add_f64 v[4:5], v[4:5], v[121:122]
	v_add_f64 v[6:7], v[6:7], v[22:23]
	;; [unrolled: 1-line block ×3, first 2 shown]
	v_add_f64 v[78:79], v[131:132], -v[135:136]
	v_fma_f64 v[22:23], v[22:23], -0.5, v[18:19]
	v_fma_f64 v[18:19], v[57:58], s[14:15], v[22:23]
	v_fma_f64 v[22:23], v[57:58], s[12:13], v[22:23]
	v_add_f64 v[57:58], v[12:13], v[123:124]
	v_fma_f64 v[12:13], v[61:62], s[12:13], v[59:60]
	v_fma_f64 v[61:62], v[61:62], s[14:15], v[59:60]
	v_add_f64 v[59:60], v[14:15], v[125:126]
	v_fma_f64 v[14:15], v[65:66], s[14:15], v[63:64]
	v_fma_f64 v[63:64], v[65:66], s[12:13], v[63:64]
	v_add_f64 v[65:66], v[8:9], v[131:132]
	v_add_f64 v[57:58], v[57:58], v[127:128]
	v_add_f64 v[59:60], v[59:60], v[129:130]
	v_add_f64 v[74:75], v[65:66], v[135:136]
	v_add_f64 v[65:66], v[131:132], v[135:136]
	v_fma_f64 v[65:66], v[65:66], -0.5, v[8:9]
	v_fma_f64 v[8:9], v[76:77], s[12:13], v[65:66]
	v_fma_f64 v[108:109], v[76:77], s[14:15], v[65:66]
	v_add_f64 v[65:66], v[10:11], v[133:134]
	v_add_f64 v[76:77], v[65:66], v[137:138]
	;; [unrolled: 1-line block ×3, first 2 shown]
	v_fma_f64 v[65:66], v[65:66], -0.5, v[10:11]
	v_fma_f64 v[10:11], v[78:79], s[14:15], v[65:66]
	v_fma_f64 v[110:111], v[78:79], s[12:13], v[65:66]
	v_add_f64 v[65:66], v[0:1], v[48:49]
	v_add_f64 v[78:79], v[50:51], -v[54:55]
	v_add_f64 v[112:113], v[65:66], v[52:53]
	v_add_f64 v[65:66], v[48:49], v[52:53]
	v_add_f64 v[48:49], v[48:49], -v[52:53]
	v_fma_f64 v[65:66], v[65:66], -0.5, v[0:1]
	v_fma_f64 v[0:1], v[78:79], s[12:13], v[65:66]
	v_fma_f64 v[117:118], v[78:79], s[14:15], v[65:66]
	v_add_f64 v[65:66], v[2:3], v[50:51]
	v_add_f64 v[50:51], v[50:51], v[54:55]
	v_add_f64 v[114:115], v[65:66], v[54:55]
	v_fma_f64 v[50:51], v[50:51], -0.5, v[2:3]
	v_add_f64 v[54:55], v[42:43], -v[46:47]
	v_fma_f64 v[2:3], v[48:49], s[14:15], v[50:51]
	v_fma_f64 v[119:120], v[48:49], s[12:13], v[50:51]
	v_add_f64 v[50:51], v[40:41], v[44:45]
	v_add_f64 v[48:49], v[104:105], v[40:41]
	v_add_f64 v[40:41], v[40:41], -v[44:45]
	v_fma_f64 v[50:51], v[50:51], -0.5, v[104:105]
	v_add_f64 v[48:49], v[48:49], v[44:45]
	v_fma_f64 v[52:53], v[54:55], s[12:13], v[50:51]
	v_fma_f64 v[104:105], v[54:55], s[14:15], v[50:51]
	v_add_f64 v[50:51], v[106:107], v[42:43]
	v_add_f64 v[42:43], v[42:43], v[46:47]
	v_add_f64 v[50:51], v[50:51], v[46:47]
	v_fma_f64 v[42:43], v[42:43], -0.5, v[106:107]
	v_add_f64 v[46:47], v[34:35], -v[38:39]
	v_fma_f64 v[54:55], v[40:41], s[14:15], v[42:43]
	v_fma_f64 v[106:107], v[40:41], s[12:13], v[42:43]
	v_add_f64 v[42:43], v[32:33], v[36:37]
	v_add_f64 v[40:41], v[100:101], v[32:33]
	v_add_f64 v[32:33], v[32:33], -v[36:37]
	v_fma_f64 v[42:43], v[42:43], -0.5, v[100:101]
	v_add_f64 v[40:41], v[40:41], v[36:37]
	;; [unrolled: 14-line block ×3, first 2 shown]
	v_fma_f64 v[36:37], v[38:39], s[12:13], v[34:35]
	v_fma_f64 v[96:97], v[38:39], s[14:15], v[34:35]
	v_add_f64 v[34:35], v[98:99], v[28:29]
	v_add_f64 v[28:29], v[28:29], v[30:31]
	;; [unrolled: 1-line block ×3, first 2 shown]
	v_fma_f64 v[28:29], v[28:29], -0.5, v[98:99]
	v_fma_f64 v[38:39], v[24:25], s[14:15], v[28:29]
	v_fma_f64 v[98:99], v[24:25], s[12:13], v[28:29]
	v_lshrrev_b32_e32 v24, 3, v139
	v_mul_u32_u24_e32 v24, 24, v24
	v_or_b32_e32 v24, v24, v56
	v_lshlrev_b32_e32 v24, 4, v24
	ds_write_b128 v24, v[4:7]
	ds_write_b128 v24, v[16:19] offset:128
	v_lshrrev_b32_e32 v4, 3, v69
	v_mul_u32_u24_e32 v4, 24, v4
	v_or_b32_e32 v4, v4, v56
	v_lshlrev_b32_e32 v4, 4, v4
	buffer_store_dword v24, off, s[36:39], 0 offset:576 ; 4-byte Folded Spill
	ds_write_b128 v24, v[20:23] offset:256
	ds_write_b128 v4, v[57:60]
	ds_write_b128 v4, v[12:15] offset:128
	buffer_store_dword v4, off, s[36:39], 0 offset:572 ; 4-byte Folded Spill
	ds_write_b128 v4, v[61:64] offset:256
	v_lshrrev_b32_e32 v4, 3, v68
	v_mul_u32_u24_e32 v4, 24, v4
	v_or_b32_e32 v4, v4, v56
	v_lshlrev_b32_e32 v4, 4, v4
	ds_write_b128 v4, v[74:77]
	ds_write_b128 v4, v[8:11] offset:128
	buffer_store_dword v4, off, s[36:39], 0 offset:568 ; 4-byte Folded Spill
	ds_write_b128 v4, v[108:111] offset:256
	v_lshrrev_b32_e32 v4, 3, v73
	v_mul_u32_u24_e32 v4, 24, v4
	v_or_b32_e32 v4, v4, v56
	v_lshlrev_b32_e32 v4, 4, v4
	ds_write_b128 v4, v[112:115]
	ds_write_b128 v4, v[0:3] offset:128
	v_lshrrev_b32_e32 v0, 3, v72
	v_mul_u32_u24_e32 v0, 24, v0
	v_or_b32_e32 v0, v0, v56
	v_lshlrev_b32_e32 v0, 4, v0
	buffer_store_dword v4, off, s[36:39], 0 offset:532 ; 4-byte Folded Spill
	ds_write_b128 v4, v[117:120] offset:256
	ds_write_b128 v0, v[48:51]
	ds_write_b128 v0, v[52:55] offset:128
	buffer_store_dword v0, off, s[36:39], 0 offset:512 ; 4-byte Folded Spill
	ds_write_b128 v0, v[104:107] offset:256
	v_lshrrev_b32_e32 v0, 3, v71
	v_mul_u32_u24_e32 v0, 24, v0
	s_movk_i32 s12, 0xab
	v_or_b32_e32 v0, v0, v56
	v_mul_lo_u16_sdwa v24, v139, s12 dst_sel:DWORD dst_unused:UNUSED_PAD src0_sel:BYTE_0 src1_sel:DWORD
	v_lshlrev_b32_e32 v0, 4, v0
	v_lshrrev_b16_e32 v60, 12, v24
	ds_write_b128 v0, v[40:43]
	ds_write_b128 v0, v[44:47] offset:128
	buffer_store_dword v0, off, s[36:39], 0 offset:492 ; 4-byte Folded Spill
	ds_write_b128 v0, v[100:103] offset:256
	v_lshrrev_b32_e32 v0, 3, v70
	v_mul_lo_u16_e32 v24, 24, v60
	v_mul_u32_u24_e32 v0, 24, v0
	v_sub_u16_e32 v24, v139, v24
	v_or_b32_e32 v0, v0, v56
	v_and_b32_e32 v61, 0xff, v24
	v_mov_b32_e32 v25, s5
	v_lshlrev_b32_e32 v0, 4, v0
	v_mov_b32_e32 v24, s4
	ds_write_b128 v0, v[32:35]
	ds_write_b128 v0, v[36:39] offset:128
	v_mad_u64_u32 v[34:35], s[4:5], v61, s30, v[24:25]
	buffer_store_dword v0, off, s[36:39], 0 offset:488 ; 4-byte Folded Spill
	ds_write_b128 v0, v[96:99] offset:256
	s_waitcnt lgkmcnt(0)
	; wave barrier
	s_waitcnt lgkmcnt(0)
	ds_read_b128 v[180:183], v116
	ds_read_b128 v[16:19], v116 offset:2688
	ds_read_b128 v[20:23], v116 offset:5376
	;; [unrolled: 1-line block ×20, first 2 shown]
	global_load_dwordx4 v[100:103], v[34:35], off offset:400
	global_load_dwordx4 v[46:49], v[34:35], off offset:384
	;; [unrolled: 1-line block ×4, first 2 shown]
	v_mov_b32_e32 v112, v139
	s_mov_b32 s14, 0x36b3c0b5
	s_mov_b32 s15, 0x3fac98ee
	s_waitcnt vmcnt(0) lgkmcnt(14)
	v_mul_f64 v[36:37], v[18:19], v[40:41]
	v_fma_f64 v[36:37], v[16:17], v[38:39], -v[36:37]
	v_mul_f64 v[16:17], v[16:17], v[40:41]
	buffer_store_dword v38, off, s[36:39], 0 offset:580 ; 4-byte Folded Spill
	s_nop 0
	buffer_store_dword v39, off, s[36:39], 0 offset:584 ; 4-byte Folded Spill
	buffer_store_dword v40, off, s[36:39], 0 offset:588 ; 4-byte Folded Spill
	buffer_store_dword v41, off, s[36:39], 0 offset:592 ; 4-byte Folded Spill
	v_fma_f64 v[42:43], v[18:19], v[38:39], v[16:17]
	v_mul_f64 v[16:17], v[22:23], v[106:107]
	v_fma_f64 v[38:39], v[20:21], v[104:105], -v[16:17]
	v_mul_f64 v[16:17], v[20:21], v[106:107]
	buffer_store_dword v104, off, s[36:39], 0 offset:536 ; 4-byte Folded Spill
	s_nop 0
	buffer_store_dword v105, off, s[36:39], 0 offset:540 ; 4-byte Folded Spill
	buffer_store_dword v106, off, s[36:39], 0 offset:544 ; 4-byte Folded Spill
	buffer_store_dword v107, off, s[36:39], 0 offset:548 ; 4-byte Folded Spill
	v_fma_f64 v[44:45], v[22:23], v[104:105], v[16:17]
	;; [unrolled: 9-line block ×3, first 2 shown]
	v_mul_f64 v[16:17], v[32:33], v[102:103]
	v_fma_f64 v[48:49], v[30:31], v[100:101], -v[16:17]
	v_mul_f64 v[16:17], v[30:31], v[102:103]
	buffer_store_dword v100, off, s[36:39], 0 offset:496 ; 4-byte Folded Spill
	s_nop 0
	buffer_store_dword v101, off, s[36:39], 0 offset:500 ; 4-byte Folded Spill
	buffer_store_dword v102, off, s[36:39], 0 offset:504 ; 4-byte Folded Spill
	buffer_store_dword v103, off, s[36:39], 0 offset:508 ; 4-byte Folded Spill
	global_load_dwordx4 v[18:21], v[34:35], off offset:432
	global_load_dwordx4 v[120:123], v[34:35], off offset:416
	v_fma_f64 v[50:51], v[32:33], v[100:101], v[16:17]
	s_waitcnt vmcnt(0)
	v_mul_f64 v[16:17], v[54:55], v[122:123]
	v_fma_f64 v[78:79], v[52:53], v[120:121], -v[16:17]
	v_mul_f64 v[16:17], v[52:53], v[122:123]
	v_fma_f64 v[117:118], v[54:55], v[120:121], v[16:17]
	v_mul_f64 v[16:17], v[58:59], v[20:21]
	v_fma_f64 v[172:173], v[56:57], v[18:19], -v[16:17]
	v_mul_f64 v[16:17], v[56:57], v[20:21]
	buffer_store_dword v18, off, s[36:39], 0 offset:552 ; 4-byte Folded Spill
	s_nop 0
	buffer_store_dword v19, off, s[36:39], 0 offset:556 ; 4-byte Folded Spill
	buffer_store_dword v20, off, s[36:39], 0 offset:560 ; 4-byte Folded Spill
	buffer_store_dword v21, off, s[36:39], 0 offset:564 ; 4-byte Folded Spill
	v_fma_f64 v[174:175], v[58:59], v[18:19], v[16:17]
	v_mul_lo_u16_sdwa v16, v69, s12 dst_sel:DWORD dst_unused:UNUSED_PAD src0_sel:BYTE_0 src1_sel:DWORD
	v_lshrrev_b16_e32 v62, 12, v16
	v_mul_lo_u16_e32 v16, 24, v62
	v_sub_u16_e32 v16, v69, v16
	v_and_b32_e32 v63, 0xff, v16
	v_mad_u64_u32 v[22:23], s[4:5], v63, s30, v[24:25]
	global_load_dwordx4 v[100:103], v[22:23], off offset:400
	global_load_dwordx4 v[124:127], v[22:23], off offset:384
	;; [unrolled: 1-line block ×6, first 2 shown]
	s_waitcnt vmcnt(5) lgkmcnt(9)
	v_mul_f64 v[32:33], v[98:99], v[102:103]
	s_waitcnt vmcnt(4)
	v_mul_f64 v[30:31], v[74:75], v[126:127]
	s_waitcnt vmcnt(3)
	;; [unrolled: 2-line block ×3, first 2 shown]
	v_mul_f64 v[16:17], v[66:67], v[138:139]
	s_waitcnt vmcnt(0) lgkmcnt(8)
	v_mul_f64 v[22:23], v[146:147], v[142:143]
	v_mul_f64 v[18:19], v[64:65], v[138:139]
	v_mul_f64 v[34:35], v[96:97], v[102:103]
	v_fma_f64 v[32:33], v[96:97], v[100:101], -v[32:33]
	v_fma_f64 v[30:31], v[76:77], v[124:125], v[30:31]
	v_fma_f64 v[28:29], v[72:73], v[128:129], v[20:21]
	v_fma_f64 v[16:17], v[64:65], v[136:137], -v[16:17]
	v_fma_f64 v[52:53], v[144:145], v[140:141], -v[22:23]
	v_mul_f64 v[22:23], v[144:145], v[142:143]
	v_fma_f64 v[26:27], v[66:67], v[136:137], v[18:19]
	v_mul_f64 v[18:19], v[72:73], v[130:131]
	v_mul_f64 v[20:21], v[76:77], v[126:127]
	v_add_f64 v[72:73], v[44:45], v[117:118]
	v_add_f64 v[44:45], v[44:45], -v[117:118]
	v_add_f64 v[76:77], v[46:47], v[50:51]
	v_add_f64 v[46:47], v[50:51], -v[46:47]
	v_fma_f64 v[54:55], v[146:147], v[140:141], v[22:23]
	s_waitcnt lgkmcnt(7)
	v_mul_f64 v[22:23], v[150:151], v[134:135]
	v_fma_f64 v[18:19], v[70:71], v[128:129], -v[18:19]
	v_add_f64 v[70:71], v[38:39], v[78:79]
	v_fma_f64 v[20:21], v[74:75], v[124:125], -v[20:21]
	v_add_f64 v[38:39], v[38:39], -v[78:79]
	v_add_f64 v[74:75], v[40:41], v[48:49]
	v_add_f64 v[40:41], v[48:49], -v[40:41]
	v_fma_f64 v[34:35], v[98:99], v[100:101], v[34:35]
	v_fma_f64 v[56:57], v[148:149], v[132:133], -v[22:23]
	v_mul_f64 v[22:23], v[148:149], v[134:135]
	v_add_f64 v[117:118], v[46:47], v[44:45]
	v_add_f64 v[98:99], v[40:41], v[38:39]
	v_fma_f64 v[58:59], v[150:151], v[132:133], v[22:23]
	v_mul_lo_u16_sdwa v22, v68, s12 dst_sel:DWORD dst_unused:UNUSED_PAD src0_sel:BYTE_0 src1_sel:DWORD
	v_lshrrev_b16_e32 v64, 12, v22
	v_mul_lo_u16_e32 v22, 24, v64
	v_sub_u16_e32 v22, v68, v22
	v_and_b32_e32 v65, 0xff, v22
	v_mad_u64_u32 v[66:67], s[4:5], v65, s30, v[24:25]
	global_load_dwordx4 v[144:147], v[66:67], off offset:400
	global_load_dwordx4 v[148:151], v[66:67], off offset:384
	;; [unrolled: 1-line block ×6, first 2 shown]
	v_add_f64 v[68:69], v[42:43], v[174:175]
	v_add_f64 v[42:43], v[42:43], -v[174:175]
	v_add_f64 v[174:175], v[46:47], -v[44:45]
	s_mov_b32 s12, 0x429ad128
	s_mov_b32 s13, 0x3febfeb5
	;; [unrolled: 1-line block ×4, first 2 shown]
	s_waitcnt lgkmcnt(0)
	v_add_f64 v[50:51], v[72:73], v[68:69]
	v_add_f64 v[96:97], v[72:73], -v[68:69]
	v_add_f64 v[68:69], v[68:69], -v[76:77]
	;; [unrolled: 1-line block ×5, first 2 shown]
	v_add_f64 v[42:43], v[117:118], v[42:43]
	; wave barrier
	v_add_f64 v[50:51], v[76:77], v[50:51]
	v_mad_u64_u32 v[24:25], s[30:31], v112, s30, v[24:25]
	v_mul_f64 v[68:69], v[68:69], s[28:29]
	s_movk_i32 s30, 0x1500
	s_waitcnt vmcnt(2)
	v_mul_f64 v[22:23], v[14:15], v[162:163]
	s_waitcnt vmcnt(0)
	v_mul_f64 v[66:67], v[188:189], v[166:167]
	v_fma_f64 v[22:23], v[12:13], v[160:161], -v[22:23]
	v_mul_f64 v[12:13], v[12:13], v[162:163]
	v_fma_f64 v[14:15], v[14:15], v[160:161], v[12:13]
	v_mul_f64 v[12:13], v[10:11], v[154:155]
	v_fma_f64 v[12:13], v[8:9], v[152:153], -v[12:13]
	v_mul_f64 v[8:9], v[8:9], v[154:155]
	v_fma_f64 v[10:11], v[10:11], v[152:153], v[8:9]
	;; [unrolled: 4-line block ×4, first 2 shown]
	v_mul_f64 v[2:3], v[190:191], v[166:167]
	v_fma_f64 v[2:3], v[188:189], v[164:165], -v[2:3]
	v_fma_f64 v[188:189], v[190:191], v[164:165], v[66:67]
	v_mul_f64 v[66:67], v[186:187], v[158:159]
	v_fma_f64 v[190:191], v[184:185], v[156:157], -v[66:67]
	v_mul_f64 v[66:67], v[184:185], v[158:159]
	v_fma_f64 v[184:185], v[186:187], v[156:157], v[66:67]
	v_add_f64 v[66:67], v[36:37], v[172:173]
	v_add_f64 v[36:37], v[36:37], -v[172:173]
	v_add_f64 v[172:173], v[40:41], -v[38:39]
	v_add_f64 v[48:49], v[70:71], v[66:67]
	v_add_f64 v[78:79], v[70:71], -v[66:67]
	v_add_f64 v[66:67], v[66:67], -v[74:75]
	;; [unrolled: 1-line block ×5, first 2 shown]
	v_add_f64 v[38:39], v[182:183], v[50:51]
	v_mul_f64 v[117:118], v[172:173], s[16:17]
	v_add_f64 v[48:49], v[74:75], v[48:49]
	v_add_f64 v[74:75], v[98:99], v[36:37]
	v_mul_f64 v[66:67], v[66:67], s[28:29]
	v_mul_f64 v[76:77], v[70:71], s[14:15]
	;; [unrolled: 1-line block ×5, first 2 shown]
	v_fma_f64 v[50:51], v[50:51], s[20:21], v[38:39]
	v_add_f64 v[36:37], v[180:181], v[48:49]
	v_mul_f64 v[180:181], v[44:45], s[12:13]
	v_fma_f64 v[70:71], v[70:71], s[14:15], v[66:67]
	v_fma_f64 v[72:73], v[72:73], s[14:15], v[68:69]
	v_fma_f64 v[76:77], v[78:79], s[18:19], -v[76:77]
	v_fma_f64 v[98:99], v[96:97], s[18:19], -v[98:99]
	;; [unrolled: 1-line block ×4, first 2 shown]
	v_fma_f64 v[48:49], v[48:49], s[20:21], v[36:37]
	v_fma_f64 v[78:79], v[40:41], s[24:25], v[117:118]
	;; [unrolled: 1-line block ×3, first 2 shown]
	v_fma_f64 v[117:118], v[186:187], s[12:13], -v[117:118]
	v_fma_f64 v[44:45], v[44:45], s[12:13], -v[172:173]
	;; [unrolled: 1-line block ×4, first 2 shown]
	v_add_f64 v[174:175], v[72:73], v[50:51]
	v_add_f64 v[172:173], v[70:71], v[48:49]
	;; [unrolled: 1-line block ×6, first 2 shown]
	v_fma_f64 v[78:79], v[74:75], s[4:5], v[78:79]
	v_fma_f64 v[96:97], v[42:43], s[4:5], v[96:97]
	;; [unrolled: 1-line block ×6, first 2 shown]
	v_add_f64 v[42:43], v[174:175], -v[78:79]
	v_add_f64 v[40:41], v[96:97], v[172:173]
	v_add_f64 v[50:51], v[68:69], v[72:73]
	v_add_f64 v[48:49], v[70:71], -v[66:67]
	v_add_f64 v[46:47], v[98:99], -v[74:75]
	v_add_f64 v[44:45], v[117:118], v[76:77]
	v_add_f64 v[66:67], v[66:67], v[70:71]
	v_add_f64 v[68:69], v[72:73], -v[68:69]
	v_add_f64 v[70:71], v[76:77], -v[117:118]
	v_add_f64 v[72:73], v[74:75], v[98:99]
	v_add_f64 v[74:75], v[172:173], -v[96:97]
	v_add_f64 v[76:77], v[78:79], v[174:175]
	v_add_f64 v[78:79], v[16:17], v[56:57]
	;; [unrolled: 1-line block ×3, first 2 shown]
	v_add_f64 v[16:17], v[16:17], -v[56:57]
	v_add_f64 v[26:27], v[26:27], -v[58:59]
	v_add_f64 v[56:57], v[18:19], v[52:53]
	v_add_f64 v[58:59], v[28:29], v[54:55]
	v_add_f64 v[18:19], v[18:19], -v[52:53]
	v_add_f64 v[28:29], v[28:29], -v[54:55]
	v_add_f64 v[52:53], v[20:21], v[32:33]
	v_add_f64 v[54:55], v[30:31], v[34:35]
	;; [unrolled: 4-line block ×3, first 2 shown]
	v_add_f64 v[98:99], v[56:57], -v[78:79]
	v_add_f64 v[117:118], v[58:59], -v[96:97]
	;; [unrolled: 1-line block ×6, first 2 shown]
	v_add_f64 v[172:173], v[20:21], v[18:19]
	v_add_f64 v[174:175], v[30:31], v[28:29]
	v_add_f64 v[180:181], v[20:21], -v[18:19]
	v_add_f64 v[182:183], v[30:31], -v[28:29]
	;; [unrolled: 1-line block ×4, first 2 shown]
	v_add_f64 v[32:33], v[52:53], v[32:33]
	v_add_f64 v[34:35], v[54:55], v[34:35]
	v_add_f64 v[20:21], v[16:17], -v[20:21]
	v_add_f64 v[30:31], v[26:27], -v[30:31]
	v_add_f64 v[52:53], v[172:173], v[16:17]
	v_add_f64 v[26:27], v[174:175], v[26:27]
	v_mul_f64 v[54:55], v[78:79], s[28:29]
	v_mul_f64 v[78:79], v[96:97], s[28:29]
	v_add_f64 v[16:17], v[176:177], v[32:33]
	v_add_f64 v[18:19], v[178:179], v[34:35]
	v_mul_f64 v[96:97], v[56:57], s[14:15]
	v_mul_f64 v[172:173], v[58:59], s[14:15]
	;; [unrolled: 1-line block ×6, first 2 shown]
	v_fma_f64 v[32:33], v[32:33], s[20:21], v[16:17]
	v_fma_f64 v[34:35], v[34:35], s[20:21], v[18:19]
	;; [unrolled: 1-line block ×4, first 2 shown]
	v_fma_f64 v[96:97], v[98:99], s[18:19], -v[96:97]
	v_fma_f64 v[172:173], v[117:118], s[18:19], -v[172:173]
	;; [unrolled: 1-line block ×4, first 2 shown]
	v_fma_f64 v[98:99], v[20:21], s[24:25], v[174:175]
	v_fma_f64 v[117:118], v[30:31], s[24:25], v[176:177]
	v_fma_f64 v[174:175], v[186:187], s[12:13], -v[174:175]
	v_fma_f64 v[28:29], v[28:29], s[12:13], -v[176:177]
	;; [unrolled: 1-line block ×4, first 2 shown]
	v_add_f64 v[176:177], v[56:57], v[32:33]
	v_add_f64 v[178:179], v[58:59], v[34:35]
	v_add_f64 v[56:57], v[96:97], v[32:33]
	v_add_f64 v[58:59], v[172:173], v[34:35]
	v_add_f64 v[96:97], v[54:55], v[32:33]
	v_add_f64 v[34:35], v[78:79], v[34:35]
	v_fma_f64 v[78:79], v[52:53], s[4:5], v[98:99]
	v_fma_f64 v[117:118], v[26:27], s[4:5], v[117:118]
	;; [unrolled: 1-line block ×6, first 2 shown]
	v_add_f64 v[28:29], v[178:179], -v[78:79]
	v_add_f64 v[26:27], v[117:118], v[176:177]
	v_add_f64 v[54:55], v[98:99], v[58:59]
	v_add_f64 v[52:53], v[56:57], -v[172:173]
	v_add_f64 v[32:33], v[34:35], -v[20:21]
	v_add_f64 v[30:31], v[174:175], v[96:97]
	v_add_f64 v[56:57], v[172:173], v[56:57]
	v_add_f64 v[58:59], v[58:59], -v[98:99]
	v_add_f64 v[96:97], v[96:97], -v[174:175]
	v_add_f64 v[98:99], v[20:21], v[34:35]
	v_add_f64 v[172:173], v[176:177], -v[117:118]
	v_add_f64 v[174:175], v[78:79], v[178:179]
	v_add_f64 v[20:21], v[22:23], v[190:191]
	;; [unrolled: 1-line block ×5, first 2 shown]
	v_add_f64 v[14:15], v[14:15], -v[184:185]
	v_add_f64 v[2:3], v[12:13], -v[2:3]
	;; [unrolled: 1-line block ×3, first 2 shown]
	v_add_f64 v[12:13], v[8:9], v[6:7]
	v_add_f64 v[176:177], v[4:5], v[0:1]
	v_add_f64 v[6:7], v[6:7], -v[8:9]
	v_add_f64 v[0:1], v[0:1], -v[4:5]
	v_add_f64 v[4:5], v[78:79], v[20:21]
	v_add_f64 v[8:9], v[117:118], v[34:35]
	v_add_f64 v[22:23], v[22:23], -v[190:191]
	v_add_f64 v[178:179], v[78:79], -v[20:21]
	;; [unrolled: 1-line block ×7, first 2 shown]
	v_add_f64 v[182:183], v[6:7], v[2:3]
	v_add_f64 v[184:185], v[0:1], v[10:11]
	v_add_f64 v[186:187], v[6:7], -v[2:3]
	v_add_f64 v[188:189], v[0:1], -v[10:11]
	;; [unrolled: 1-line block ×3, first 2 shown]
	v_add_f64 v[4:5], v[12:13], v[4:5]
	v_add_f64 v[8:9], v[176:177], v[8:9]
	v_add_f64 v[192:193], v[2:3], -v[22:23]
	v_add_f64 v[6:7], v[22:23], -v[6:7]
	;; [unrolled: 1-line block ×3, first 2 shown]
	v_add_f64 v[12:13], v[182:183], v[22:23]
	v_add_f64 v[14:15], v[184:185], v[14:15]
	v_mul_f64 v[20:21], v[20:21], s[28:29]
	v_add_f64 v[0:1], v[168:169], v[4:5]
	v_add_f64 v[2:3], v[170:171], v[8:9]
	v_mul_f64 v[22:23], v[34:35], s[28:29]
	v_mul_f64 v[34:35], v[78:79], s[14:15]
	;; [unrolled: 1-line block ×7, first 2 shown]
	v_fma_f64 v[4:5], v[4:5], s[20:21], v[0:1]
	v_fma_f64 v[8:9], v[8:9], s[20:21], v[2:3]
	;; [unrolled: 1-line block ×4, first 2 shown]
	v_fma_f64 v[34:35], v[178:179], s[18:19], -v[34:35]
	v_fma_f64 v[168:169], v[180:181], s[18:19], -v[168:169]
	v_fma_f64 v[20:21], v[178:179], s[22:23], -v[20:21]
	v_fma_f64 v[22:23], v[180:181], s[22:23], -v[22:23]
	v_fma_f64 v[178:179], v[6:7], s[24:25], v[170:171]
	v_fma_f64 v[180:181], v[190:191], s[24:25], v[176:177]
	v_fma_f64 v[170:171], v[192:193], s[12:13], -v[170:171]
	v_fma_f64 v[10:11], v[10:11], s[12:13], -v[176:177]
	;; [unrolled: 1-line block ×4, first 2 shown]
	v_add_f64 v[78:79], v[78:79], v[4:5]
	v_add_f64 v[117:118], v[117:118], v[8:9]
	v_add_f64 v[168:169], v[168:169], v[8:9]
	v_add_f64 v[182:183], v[20:21], v[4:5]
	v_add_f64 v[184:185], v[22:23], v[8:9]
	v_fma_f64 v[178:179], v[12:13], s[4:5], v[178:179]
	v_fma_f64 v[180:181], v[14:15], s[4:5], v[180:181]
	;; [unrolled: 1-line block ×4, first 2 shown]
	v_add_f64 v[34:35], v[34:35], v[4:5]
	v_fma_f64 v[20:21], v[14:15], s[4:5], v[10:11]
	v_fma_f64 v[170:171], v[12:13], s[4:5], v[6:7]
	v_add_f64 v[6:7], v[117:118], -v[178:179]
	v_add_f64 v[178:179], v[178:179], v[117:118]
	v_add_f64 v[14:15], v[22:23], v[168:169]
	v_add_f64 v[8:9], v[176:177], v[182:183]
	v_add_f64 v[22:23], v[168:169], -v[22:23]
	v_add_f64 v[168:169], v[182:183], -v[176:177]
	;; [unrolled: 1-line block ×3, first 2 shown]
	v_add_f64 v[4:5], v[180:181], v[78:79]
	v_add_f64 v[10:11], v[184:185], -v[170:171]
	v_add_f64 v[12:13], v[34:35], -v[20:21]
	v_add_f64 v[20:21], v[20:21], v[34:35]
	v_mul_u32_u24_e32 v34, 0xa8, v60
	v_add_lshl_u32 v34, v34, v61, 4
	ds_write_b128 v34, v[36:39]
	ds_write_b128 v34, v[40:43] offset:384
	ds_write_b128 v34, v[44:47] offset:768
	;; [unrolled: 1-line block ×5, first 2 shown]
	buffer_store_dword v34, off, s[36:39], 0 offset:596 ; 4-byte Folded Spill
	ds_write_b128 v34, v[74:77] offset:2304
	v_mul_u32_u24_e32 v34, 0xa8, v62
	v_add_f64 v[170:171], v[170:171], v[184:185]
	v_add_lshl_u32 v119, v34, v63, 4
	ds_write_b128 v119, v[16:19]
	ds_write_b128 v119, v[26:29] offset:384
	ds_write_b128 v119, v[30:33] offset:768
	;; [unrolled: 1-line block ×6, first 2 shown]
	v_mul_u32_u24_e32 v16, 0xa8, v64
	v_add_lshl_u32 v16, v16, v65, 4
	ds_write_b128 v16, v[0:3]
	ds_write_b128 v16, v[4:7] offset:384
	ds_write_b128 v16, v[8:11] offset:768
	;; [unrolled: 1-line block ×5, first 2 shown]
	buffer_store_dword v16, off, s[36:39], 0 offset:600 ; 4-byte Folded Spill
	ds_write_b128 v16, v[176:179] offset:2304
	s_waitcnt lgkmcnt(0)
	; wave barrier
	s_waitcnt lgkmcnt(0)
	ds_read_b128 v[252:255], v116
	ds_read_b128 v[26:29], v116 offset:2688
	ds_read_b128 v[30:33], v116 offset:5376
	;; [unrolled: 1-line block ×20, first 2 shown]
	global_load_dwordx4 v[168:171], v[24:25], off offset:2704
	global_load_dwordx4 v[176:179], v[24:25], off offset:2688
	;; [unrolled: 1-line block ×6, first 2 shown]
	s_waitcnt vmcnt(2) lgkmcnt(14)
	v_mul_f64 v[50:51], v[28:29], v[190:191]
	v_fma_f64 v[96:97], v[26:27], v[188:189], -v[50:51]
	v_mul_f64 v[26:27], v[26:27], v[190:191]
	v_fma_f64 v[98:99], v[28:29], v[188:189], v[26:27]
	v_mul_f64 v[26:27], v[32:33], v[182:183]
	v_fma_f64 v[172:173], v[30:31], v[180:181], -v[26:27]
	v_mul_f64 v[26:27], v[30:31], v[182:183]
	v_fma_f64 v[174:175], v[32:33], v[180:181], v[26:27]
	;; [unrolled: 4-line block ×4, first 2 shown]
	s_waitcnt vmcnt(0)
	v_mul_f64 v[26:27], v[44:45], v[194:195]
	v_fma_f64 v[117:118], v[42:43], v[192:193], -v[26:27]
	v_mul_f64 v[26:27], v[42:43], v[194:195]
	v_fma_f64 v[104:105], v[44:45], v[192:193], v[26:27]
	v_mul_f64 v[26:27], v[48:49], v[186:187]
	v_fma_f64 v[106:107], v[46:47], v[184:185], -v[26:27]
	v_mul_f64 v[26:27], v[46:47], v[186:187]
	v_fma_f64 v[108:109], v[48:49], v[184:185], v[26:27]
	v_add_co_u32_e32 v26, vcc, s30, v24
	v_addc_co_u32_e32 v27, vcc, 0, v25, vcc
	global_load_dwordx4 v[196:199], v[26:27], off offset:2704
	global_load_dwordx4 v[200:203], v[26:27], off offset:2688
	;; [unrolled: 1-line block ×6, first 2 shown]
	s_movk_i32 s30, 0x2a00
	s_waitcnt vmcnt(2) lgkmcnt(12)
	v_mul_f64 v[28:29], v[56:57], v[214:215]
	s_waitcnt vmcnt(0) lgkmcnt(8)
	v_mul_f64 v[26:27], v[218:219], v[222:223]
	v_fma_f64 v[52:53], v[54:55], v[212:213], -v[28:29]
	v_mul_f64 v[28:29], v[54:55], v[214:215]
	v_fma_f64 v[54:55], v[56:57], v[212:213], v[28:29]
	v_mul_f64 v[28:29], v[60:61], v[206:207]
	v_add_co_u32_e32 v56, vcc, s30, v24
	v_addc_co_u32_e32 v57, vcc, 0, v25, vcc
	v_fma_f64 v[48:49], v[58:59], v[204:205], -v[28:29]
	v_mul_f64 v[28:29], v[58:59], v[206:207]
	v_fma_f64 v[50:51], v[60:61], v[204:205], v[28:29]
	v_mul_f64 v[28:29], v[64:65], v[202:203]
	v_fma_f64 v[60:61], v[216:217], v[220:221], -v[26:27]
	v_mul_f64 v[26:27], v[216:217], v[222:223]
	v_fma_f64 v[40:41], v[62:63], v[200:201], -v[28:29]
	v_mul_f64 v[28:29], v[62:63], v[202:203]
	v_fma_f64 v[62:63], v[218:219], v[220:221], v[26:27]
	s_waitcnt lgkmcnt(7)
	v_mul_f64 v[26:27], v[226:227], v[210:211]
	v_fma_f64 v[42:43], v[64:65], v[200:201], v[28:29]
	v_mul_f64 v[28:29], v[68:69], v[198:199]
	v_fma_f64 v[44:45], v[66:67], v[196:197], -v[28:29]
	v_mul_f64 v[28:29], v[66:67], v[198:199]
	v_fma_f64 v[46:47], v[68:69], v[196:197], v[28:29]
	v_fma_f64 v[68:69], v[224:225], v[208:209], -v[26:27]
	v_mul_f64 v[26:27], v[224:225], v[210:211]
	v_fma_f64 v[70:71], v[226:227], v[208:209], v[26:27]
	global_load_dwordx4 v[224:227], v[56:57], off offset:2704
	global_load_dwordx4 v[228:231], v[56:57], off offset:2688
	;; [unrolled: 1-line block ×6, first 2 shown]
	s_waitcnt vmcnt(2) lgkmcnt(5)
	v_mul_f64 v[24:25], v[22:23], v[238:239]
	v_fma_f64 v[36:37], v[20:21], v[236:237], -v[24:25]
	v_mul_f64 v[20:21], v[20:21], v[238:239]
	v_fma_f64 v[38:39], v[22:23], v[236:237], v[20:21]
	s_waitcnt lgkmcnt(4)
	v_mul_f64 v[20:21], v[18:19], v[234:235]
	v_add_f64 v[22:23], v[78:79], -v[74:75]
	v_fma_f64 v[32:33], v[16:17], v[232:233], -v[20:21]
	v_mul_f64 v[16:17], v[16:17], v[234:235]
	v_add_f64 v[20:21], v[76:77], -v[72:73]
	v_fma_f64 v[34:35], v[18:19], v[232:233], v[16:17]
	s_waitcnt lgkmcnt(3)
	v_mul_f64 v[16:17], v[14:15], v[230:231]
	v_add_f64 v[18:19], v[74:75], v[78:79]
	v_fma_f64 v[24:25], v[12:13], v[228:229], -v[16:17]
	v_mul_f64 v[12:13], v[12:13], v[230:231]
	v_add_f64 v[16:17], v[72:73], v[76:77]
	v_fma_f64 v[26:27], v[14:15], v[228:229], v[12:13]
	s_waitcnt lgkmcnt(2)
	v_mul_f64 v[12:13], v[10:11], v[226:227]
	v_add_f64 v[14:15], v[174:175], -v[104:105]
	v_fma_f64 v[28:29], v[8:9], v[224:225], -v[12:13]
	v_mul_f64 v[8:9], v[8:9], v[226:227]
	v_add_f64 v[12:13], v[172:173], -v[117:118]
	v_fma_f64 v[30:31], v[10:11], v[224:225], v[8:9]
	s_waitcnt vmcnt(0) lgkmcnt(1)
	v_mul_f64 v[8:9], v[6:7], v[242:243]
	v_add_f64 v[10:11], v[174:175], v[104:105]
	v_add_f64 v[104:105], v[20:21], -v[12:13]
	v_fma_f64 v[56:57], v[4:5], v[240:241], -v[8:9]
	v_mul_f64 v[4:5], v[4:5], v[242:243]
	v_add_f64 v[8:9], v[172:173], v[117:118]
	v_fma_f64 v[58:59], v[6:7], v[240:241], v[4:5]
	s_waitcnt lgkmcnt(0)
	v_mul_f64 v[4:5], v[2:3], v[218:219]
	v_add_f64 v[6:7], v[98:99], -v[108:109]
	v_fma_f64 v[64:65], v[0:1], v[216:217], -v[4:5]
	v_mul_f64 v[0:1], v[0:1], v[218:219]
	v_add_f64 v[4:5], v[96:97], -v[106:107]
	v_fma_f64 v[66:67], v[2:3], v[216:217], v[0:1]
	v_add_f64 v[0:1], v[96:97], v[106:107]
	v_add_f64 v[2:3], v[98:99], v[108:109]
	;; [unrolled: 1-line block ×4, first 2 shown]
	v_add_f64 v[106:107], v[22:23], -v[14:15]
	v_add_f64 v[20:21], v[4:5], -v[20:21]
	;; [unrolled: 1-line block ×4, first 2 shown]
	v_add_f64 v[72:73], v[8:9], v[0:1]
	v_add_f64 v[74:75], v[10:11], v[2:3]
	v_add_f64 v[76:77], v[8:9], -v[0:1]
	v_add_f64 v[78:79], v[10:11], -v[2:3]
	;; [unrolled: 1-line block ×6, first 2 shown]
	v_add_f64 v[16:17], v[16:17], v[72:73]
	v_add_f64 v[18:19], v[18:19], v[74:75]
	v_add_f64 v[14:15], v[14:15], -v[6:7]
	v_add_f64 v[4:5], v[96:97], v[4:5]
	v_add_f64 v[6:7], v[98:99], v[6:7]
	v_mul_f64 v[96:97], v[104:105], s[16:17]
	v_mul_f64 v[72:73], v[8:9], s[14:15]
	;; [unrolled: 1-line block ×3, first 2 shown]
	v_add_f64 v[252:253], v[252:253], v[16:17]
	v_add_f64 v[254:255], v[254:255], v[18:19]
	v_mul_f64 v[98:99], v[106:107], s[16:17]
	v_mul_f64 v[0:1], v[0:1], s[28:29]
	v_mul_f64 v[2:3], v[2:3], s[28:29]
	v_mul_f64 v[104:105], v[12:13], s[12:13]
	v_mul_f64 v[106:107], v[14:15], s[12:13]
	v_fma_f64 v[72:73], v[76:77], s[18:19], -v[72:73]
	v_fma_f64 v[16:17], v[16:17], s[20:21], v[252:253]
	v_fma_f64 v[18:19], v[18:19], s[20:21], v[254:255]
	v_fma_f64 v[74:75], v[78:79], s[18:19], -v[74:75]
	v_fma_f64 v[12:13], v[12:13], s[12:13], -v[96:97]
	;; [unrolled: 1-line block ×3, first 2 shown]
	v_fma_f64 v[8:9], v[8:9], s[14:15], v[0:1]
	v_fma_f64 v[10:11], v[10:11], s[14:15], v[2:3]
	v_fma_f64 v[0:1], v[76:77], s[22:23], -v[0:1]
	v_fma_f64 v[76:77], v[20:21], s[24:25], v[96:97]
	v_fma_f64 v[20:21], v[20:21], s[26:27], -v[104:105]
	v_add_f64 v[72:73], v[72:73], v[16:17]
	v_add_f64 v[74:75], v[74:75], v[18:19]
	v_fma_f64 v[104:105], v[4:5], s[4:5], v[12:13]
	v_fma_f64 v[12:13], v[6:7], s[4:5], v[14:15]
	v_fma_f64 v[2:3], v[78:79], s[22:23], -v[2:3]
	v_fma_f64 v[78:79], v[22:23], s[24:25], v[98:99]
	v_fma_f64 v[22:23], v[22:23], s[26:27], -v[106:107]
	v_add_f64 v[96:97], v[8:9], v[16:17]
	v_add_f64 v[98:99], v[10:11], v[18:19]
	;; [unrolled: 1-line block ×4, first 2 shown]
	v_add_f64 v[8:9], v[72:73], -v[12:13]
	v_add_f64 v[12:13], v[12:13], v[72:73]
	v_add_f64 v[14:15], v[74:75], -v[104:105]
	v_add_f64 v[72:73], v[52:53], v[68:69]
	v_add_f64 v[74:75], v[54:55], v[70:71]
	v_add_f64 v[52:53], v[52:53], -v[68:69]
	v_add_f64 v[54:55], v[54:55], -v[70:71]
	v_add_f64 v[68:69], v[48:49], v[60:61]
	v_add_f64 v[70:71], v[50:51], v[62:63]
	;; [unrolled: 1-line block ×3, first 2 shown]
	v_fma_f64 v[76:77], v[4:5], s[4:5], v[76:77]
	v_fma_f64 v[78:79], v[6:7], s[4:5], v[78:79]
	;; [unrolled: 1-line block ×4, first 2 shown]
	v_add_f64 v[48:49], v[48:49], -v[60:61]
	v_add_f64 v[50:51], v[50:51], -v[62:63]
	v_add_f64 v[60:61], v[40:41], v[44:45]
	v_add_f64 v[62:63], v[42:43], v[46:47]
	v_add_f64 v[40:41], v[44:45], -v[40:41]
	v_add_f64 v[42:43], v[46:47], -v[42:43]
	v_add_f64 v[44:45], v[68:69], v[72:73]
	v_add_f64 v[46:47], v[70:71], v[74:75]
	;; [unrolled: 1-line block ×3, first 2 shown]
	v_add_f64 v[6:7], v[98:99], -v[76:77]
	v_add_f64 v[0:1], v[22:23], v[16:17]
	v_add_f64 v[2:3], v[18:19], -v[20:21]
	v_add_f64 v[16:17], v[16:17], -v[22:23]
	v_add_f64 v[18:19], v[20:21], v[18:19]
	v_add_f64 v[20:21], v[96:97], -v[78:79]
	v_add_f64 v[22:23], v[76:77], v[98:99]
	v_add_f64 v[76:77], v[68:69], -v[72:73]
	v_add_f64 v[78:79], v[70:71], -v[74:75]
	v_add_f64 v[72:73], v[72:73], -v[60:61]
	v_add_f64 v[74:75], v[74:75], -v[62:63]
	v_add_f64 v[68:69], v[60:61], -v[68:69]
	v_add_f64 v[70:71], v[62:63], -v[70:71]
	v_add_f64 v[96:97], v[40:41], v[48:49]
	v_add_f64 v[98:99], v[42:43], v[50:51]
	v_add_f64 v[104:105], v[40:41], -v[48:49]
	v_add_f64 v[106:107], v[42:43], -v[50:51]
	v_add_f64 v[44:45], v[60:61], v[44:45]
	v_add_f64 v[46:47], v[62:63], v[46:47]
	v_add_f64 v[40:41], v[52:53], -v[40:41]
	v_add_f64 v[42:43], v[54:55], -v[42:43]
	;; [unrolled: 1-line block ×4, first 2 shown]
	v_add_f64 v[52:53], v[96:97], v[52:53]
	v_add_f64 v[54:55], v[98:99], v[54:55]
	;; [unrolled: 1-line block ×4, first 2 shown]
	v_mul_f64 v[60:61], v[72:73], s[28:29]
	v_mul_f64 v[62:63], v[74:75], s[28:29]
	;; [unrolled: 1-line block ×8, first 2 shown]
	v_fma_f64 v[44:45], v[44:45], s[20:21], v[248:249]
	v_fma_f64 v[46:47], v[46:47], s[20:21], v[250:251]
	v_fma_f64 v[72:73], v[76:77], s[18:19], -v[72:73]
	v_fma_f64 v[74:75], v[78:79], s[18:19], -v[74:75]
	v_fma_f64 v[48:49], v[48:49], s[12:13], -v[96:97]
	v_fma_f64 v[50:51], v[50:51], s[12:13], -v[98:99]
	v_fma_f64 v[68:69], v[68:69], s[14:15], v[60:61]
	v_fma_f64 v[70:71], v[70:71], s[14:15], v[62:63]
	v_fma_f64 v[60:61], v[76:77], s[22:23], -v[60:61]
	v_fma_f64 v[62:63], v[78:79], s[22:23], -v[62:63]
	v_fma_f64 v[76:77], v[40:41], s[24:25], v[96:97]
	v_fma_f64 v[78:79], v[42:43], s[24:25], v[98:99]
	v_fma_f64 v[40:41], v[40:41], s[26:27], -v[104:105]
	v_fma_f64 v[42:43], v[42:43], s[26:27], -v[106:107]
	v_add_f64 v[72:73], v[72:73], v[44:45]
	v_add_f64 v[74:75], v[74:75], v[46:47]
	v_fma_f64 v[96:97], v[52:53], s[4:5], v[48:49]
	v_fma_f64 v[98:99], v[54:55], s[4:5], v[50:51]
	;; [unrolled: 1-line block ×6, first 2 shown]
	v_add_f64 v[68:69], v[68:69], v[44:45]
	v_add_f64 v[70:71], v[70:71], v[46:47]
	;; [unrolled: 1-line block ×3, first 2 shown]
	v_add_f64 v[48:49], v[72:73], -v[98:99]
	v_add_f64 v[52:53], v[98:99], v[72:73]
	v_add_f64 v[54:55], v[74:75], -v[96:97]
	v_add_f64 v[72:73], v[36:37], v[64:65]
	v_add_f64 v[74:75], v[38:39], v[66:67]
	v_add_f64 v[36:37], v[36:37], -v[64:65]
	v_add_f64 v[38:39], v[38:39], -v[66:67]
	v_add_f64 v[64:65], v[32:33], v[56:57]
	v_add_f64 v[66:67], v[34:35], v[58:59]
	v_add_f64 v[60:61], v[60:61], v[44:45]
	v_add_f64 v[62:63], v[62:63], v[46:47]
	v_add_f64 v[32:33], v[32:33], -v[56:57]
	v_add_f64 v[34:35], v[34:35], -v[58:59]
	v_add_f64 v[56:57], v[24:25], v[28:29]
	v_add_f64 v[58:59], v[26:27], v[30:31]
	v_add_f64 v[24:25], v[28:29], -v[24:25]
	v_add_f64 v[26:27], v[30:31], -v[26:27]
	v_add_f64 v[28:29], v[64:65], v[72:73]
	v_add_f64 v[30:31], v[66:67], v[74:75]
	;; [unrolled: 1-line block ×3, first 2 shown]
	v_add_f64 v[42:43], v[70:71], -v[76:77]
	v_add_f64 v[44:45], v[106:107], v[60:61]
	v_add_f64 v[46:47], v[62:63], -v[104:105]
	v_add_f64 v[60:61], v[60:61], -v[106:107]
	v_add_f64 v[62:63], v[104:105], v[62:63]
	v_add_f64 v[68:69], v[68:69], -v[78:79]
	v_add_f64 v[70:71], v[76:77], v[70:71]
	v_add_f64 v[76:77], v[64:65], -v[72:73]
	v_add_f64 v[78:79], v[66:67], -v[74:75]
	;; [unrolled: 1-line block ×6, first 2 shown]
	v_add_f64 v[96:97], v[24:25], v[32:33]
	v_add_f64 v[98:99], v[26:27], v[34:35]
	v_add_f64 v[104:105], v[24:25], -v[32:33]
	v_add_f64 v[106:107], v[26:27], -v[34:35]
	;; [unrolled: 1-line block ×4, first 2 shown]
	v_add_f64 v[28:29], v[56:57], v[28:29]
	v_add_f64 v[30:31], v[58:59], v[30:31]
	v_add_f64 v[108:109], v[36:37], -v[24:25]
	v_add_f64 v[110:111], v[38:39], -v[26:27]
	v_add_f64 v[36:37], v[96:97], v[36:37]
	v_add_f64 v[38:39], v[98:99], v[38:39]
	v_mul_f64 v[56:57], v[72:73], s[28:29]
	v_mul_f64 v[58:59], v[74:75], s[28:29]
	v_add_f64 v[24:25], v[244:245], v[28:29]
	v_add_f64 v[26:27], v[246:247], v[30:31]
	v_mul_f64 v[72:73], v[64:65], s[14:15]
	v_mul_f64 v[74:75], v[66:67], s[14:15]
	;; [unrolled: 1-line block ×6, first 2 shown]
	v_fma_f64 v[28:29], v[28:29], s[20:21], v[24:25]
	v_fma_f64 v[30:31], v[30:31], s[20:21], v[26:27]
	;; [unrolled: 1-line block ×4, first 2 shown]
	v_fma_f64 v[72:73], v[76:77], s[18:19], -v[72:73]
	v_fma_f64 v[74:75], v[78:79], s[18:19], -v[74:75]
	;; [unrolled: 1-line block ×4, first 2 shown]
	v_fma_f64 v[76:77], v[108:109], s[24:25], v[96:97]
	v_fma_f64 v[78:79], v[110:111], s[24:25], v[98:99]
	v_fma_f64 v[32:33], v[32:33], s[12:13], -v[96:97]
	v_fma_f64 v[34:35], v[34:35], s[12:13], -v[98:99]
	;; [unrolled: 1-line block ×4, first 2 shown]
	v_add_f64 v[104:105], v[64:65], v[28:29]
	v_add_f64 v[106:107], v[66:67], v[30:31]
	;; [unrolled: 1-line block ×6, first 2 shown]
	v_fma_f64 v[76:77], v[36:37], s[4:5], v[76:77]
	v_fma_f64 v[78:79], v[38:39], s[4:5], v[78:79]
	;; [unrolled: 1-line block ×6, first 2 shown]
	s_movk_i32 s4, 0x2000
	v_add_f64 v[30:31], v[106:107], -v[76:77]
	v_add_f64 v[28:29], v[78:79], v[104:105]
	v_add_f64 v[38:39], v[58:59], v[66:67]
	v_add_f64 v[36:37], v[64:65], -v[56:57]
	v_add_f64 v[34:35], v[74:75], -v[96:97]
	v_add_f64 v[32:33], v[98:99], v[72:73]
	v_add_f64 v[56:57], v[56:57], v[64:65]
	v_add_f64 v[58:59], v[66:67], -v[58:59]
	v_add_f64 v[64:65], v[72:73], -v[98:99]
	v_add_f64 v[66:67], v[96:97], v[74:75]
	v_add_f64 v[244:245], v[104:105], -v[78:79]
	v_add_f64 v[246:247], v[76:77], v[106:107]
	ds_write_b128 v116, v[252:255]
	ds_write_b128 v116, v[4:7] offset:2688
	ds_write_b128 v116, v[0:3] offset:5376
	;; [unrolled: 1-line block ×20, first 2 shown]
	v_lshlrev_b32_e32 v16, 4, v112
	s_waitcnt lgkmcnt(0)
	; wave barrier
	s_waitcnt lgkmcnt(0)
	global_load_dwordx4 v[8:11], v16, s[2:3]
	ds_read_b128 v[4:7], v116
	v_add_co_u32_e32 v2, vcc, s2, v16
	v_mov_b32_e32 v0, s3
	v_addc_co_u32_e32 v3, vcc, 0, v0, vcc
	buffer_store_dword v112, off, s[36:39], 0 offset:40 ; 4-byte Folded Spill
	s_waitcnt vmcnt(1) lgkmcnt(0)
	v_mul_f64 v[0:1], v[6:7], v[10:11]
	v_fma_f64 v[12:13], v[4:5], v[8:9], -v[0:1]
	v_mul_f64 v[0:1], v[4:5], v[10:11]
	v_fma_f64 v[14:15], v[6:7], v[8:9], v[0:1]
	v_add_co_u32_e32 v0, vcc, s4, v2
	v_addc_co_u32_e32 v1, vcc, 0, v3, vcc
	global_load_dwordx4 v[8:11], v[0:1], off offset:1216
	ds_read_b128 v[4:7], v116 offset:9408
	s_movk_i32 s4, 0x3000
	ds_write_b128 v116, v[12:15]
	s_waitcnt vmcnt(0) lgkmcnt(1)
	v_mul_f64 v[12:13], v[6:7], v[10:11]
	v_fma_f64 v[12:13], v[4:5], v[8:9], -v[12:13]
	v_mul_f64 v[4:5], v[4:5], v[10:11]
	v_fma_f64 v[14:15], v[6:7], v[8:9], v[4:5]
	global_load_dwordx4 v[8:11], v16, s[2:3] offset:896
	ds_read_b128 v[4:7], v116 offset:896
	ds_write_b128 v116, v[12:15] offset:9408
	s_waitcnt vmcnt(0) lgkmcnt(1)
	v_mul_f64 v[12:13], v[6:7], v[10:11]
	v_fma_f64 v[12:13], v[4:5], v[8:9], -v[12:13]
	v_mul_f64 v[4:5], v[4:5], v[10:11]
	v_fma_f64 v[14:15], v[6:7], v[8:9], v[4:5]
	global_load_dwordx4 v[8:11], v[0:1], off offset:2112
	ds_read_b128 v[4:7], v116 offset:10304
	ds_write_b128 v116, v[12:15] offset:896
	s_waitcnt vmcnt(0) lgkmcnt(1)
	v_mul_f64 v[12:13], v[6:7], v[10:11]
	v_fma_f64 v[12:13], v[4:5], v[8:9], -v[12:13]
	v_mul_f64 v[4:5], v[4:5], v[10:11]
	v_fma_f64 v[14:15], v[6:7], v[8:9], v[4:5]
	global_load_dwordx4 v[8:11], v16, s[2:3] offset:1792
	ds_read_b128 v[4:7], v116 offset:1792
	ds_write_b128 v116, v[12:15] offset:10304
	s_waitcnt vmcnt(0) lgkmcnt(1)
	v_mul_f64 v[12:13], v[6:7], v[10:11]
	v_fma_f64 v[12:13], v[4:5], v[8:9], -v[12:13]
	v_mul_f64 v[4:5], v[4:5], v[10:11]
	v_fma_f64 v[14:15], v[6:7], v[8:9], v[4:5]
	global_load_dwordx4 v[8:11], v[0:1], off offset:3008
	ds_read_b128 v[4:7], v116 offset:11200
	ds_write_b128 v116, v[12:15] offset:1792
	s_waitcnt vmcnt(0) lgkmcnt(1)
	v_mul_f64 v[12:13], v[6:7], v[10:11]
	v_fma_f64 v[12:13], v[4:5], v[8:9], -v[12:13]
	v_mul_f64 v[4:5], v[4:5], v[10:11]
	v_fma_f64 v[14:15], v[6:7], v[8:9], v[4:5]
	global_load_dwordx4 v[8:11], v16, s[2:3] offset:2688
	ds_read_b128 v[4:7], v116 offset:2688
	ds_write_b128 v116, v[12:15] offset:11200
	s_waitcnt vmcnt(0) lgkmcnt(1)
	v_mul_f64 v[12:13], v[6:7], v[10:11]
	v_fma_f64 v[12:13], v[4:5], v[8:9], -v[12:13]
	v_mul_f64 v[4:5], v[4:5], v[10:11]
	v_fma_f64 v[14:15], v[6:7], v[8:9], v[4:5]
	global_load_dwordx4 v[8:11], v[0:1], off offset:3904
	ds_read_b128 v[4:7], v116 offset:12096
	ds_write_b128 v116, v[12:15] offset:2688
	s_waitcnt vmcnt(0) lgkmcnt(1)
	v_mul_f64 v[0:1], v[6:7], v[10:11]
	v_fma_f64 v[12:13], v[4:5], v[8:9], -v[0:1]
	v_mul_f64 v[0:1], v[4:5], v[10:11]
	v_fma_f64 v[14:15], v[6:7], v[8:9], v[0:1]
	global_load_dwordx4 v[8:11], v16, s[2:3] offset:3584
	ds_read_b128 v[4:7], v116 offset:3584
	ds_write_b128 v116, v[12:15] offset:12096
	s_waitcnt vmcnt(0) lgkmcnt(1)
	v_mul_f64 v[0:1], v[6:7], v[10:11]
	v_fma_f64 v[12:13], v[4:5], v[8:9], -v[0:1]
	v_mul_f64 v[0:1], v[4:5], v[10:11]
	v_fma_f64 v[14:15], v[6:7], v[8:9], v[0:1]
	v_add_co_u32_e32 v0, vcc, s4, v2
	v_addc_co_u32_e32 v1, vcc, 0, v3, vcc
	global_load_dwordx4 v[8:11], v[0:1], off offset:704
	ds_read_b128 v[4:7], v116 offset:12992
	s_movk_i32 s4, 0x1000
	ds_write_b128 v116, v[12:15] offset:3584
	v_add_co_u32_e32 v16, vcc, s4, v2
	v_addc_co_u32_e32 v17, vcc, 0, v3, vcc
	s_waitcnt vmcnt(0) lgkmcnt(1)
	v_mul_f64 v[12:13], v[6:7], v[10:11]
	v_fma_f64 v[12:13], v[4:5], v[8:9], -v[12:13]
	v_mul_f64 v[4:5], v[4:5], v[10:11]
	v_fma_f64 v[14:15], v[6:7], v[8:9], v[4:5]
	global_load_dwordx4 v[8:11], v[16:17], off offset:384
	ds_read_b128 v[4:7], v116 offset:4480
	ds_write_b128 v116, v[12:15] offset:12992
	s_waitcnt vmcnt(0) lgkmcnt(1)
	v_mul_f64 v[12:13], v[6:7], v[10:11]
	v_fma_f64 v[12:13], v[4:5], v[8:9], -v[12:13]
	v_mul_f64 v[4:5], v[4:5], v[10:11]
	v_fma_f64 v[14:15], v[6:7], v[8:9], v[4:5]
	global_load_dwordx4 v[8:11], v[0:1], off offset:1600
	ds_read_b128 v[4:7], v116 offset:13888
	ds_write_b128 v116, v[12:15] offset:4480
	;; [unrolled: 8-line block ×6, first 2 shown]
	s_waitcnt vmcnt(0) lgkmcnt(1)
	v_mul_f64 v[0:1], v[6:7], v[10:11]
	v_fma_f64 v[12:13], v[4:5], v[8:9], -v[0:1]
	v_mul_f64 v[0:1], v[4:5], v[10:11]
	v_fma_f64 v[14:15], v[6:7], v[8:9], v[0:1]
	buffer_load_dword v0, off, s[36:39], 0 offset:424 ; 4-byte Folded Reload
	ds_read_b128 v[4:7], v116 offset:7168
	ds_write_b128 v116, v[12:15] offset:15680
	s_waitcnt vmcnt(0)
	global_load_dwordx4 v[8:11], v0, s[2:3]
	s_movk_i32 s2, 0x4000
	s_waitcnt vmcnt(0) lgkmcnt(1)
	v_mul_f64 v[0:1], v[6:7], v[10:11]
	v_fma_f64 v[12:13], v[4:5], v[8:9], -v[0:1]
	v_mul_f64 v[0:1], v[4:5], v[10:11]
	v_fma_f64 v[14:15], v[6:7], v[8:9], v[0:1]
	v_add_co_u32_e32 v0, vcc, s2, v2
	v_addc_co_u32_e32 v1, vcc, 0, v3, vcc
	global_load_dwordx4 v[8:11], v[0:1], off offset:192
	ds_read_b128 v[4:7], v116 offset:16576
	ds_write_b128 v116, v[12:15] offset:7168
	s_waitcnt vmcnt(0) lgkmcnt(1)
	v_mul_f64 v[12:13], v[6:7], v[10:11]
	v_fma_f64 v[12:13], v[4:5], v[8:9], -v[12:13]
	v_mul_f64 v[4:5], v[4:5], v[10:11]
	v_fma_f64 v[14:15], v[6:7], v[8:9], v[4:5]
	global_load_dwordx4 v[8:11], v[16:17], off offset:3968
	ds_read_b128 v[4:7], v116 offset:8064
	ds_write_b128 v116, v[12:15] offset:16576
	s_waitcnt vmcnt(0) lgkmcnt(1)
	v_mul_f64 v[12:13], v[6:7], v[10:11]
	v_fma_f64 v[12:13], v[4:5], v[8:9], -v[12:13]
	v_mul_f64 v[4:5], v[4:5], v[10:11]
	v_fma_f64 v[14:15], v[6:7], v[8:9], v[4:5]
	;; [unrolled: 8-line block ×3, first 2 shown]
	ds_write_b128 v116, v[12:15] offset:17472
	s_and_saveexec_b64 s[2:3], s[0:1]
	s_cbranch_execz .LBB0_17
; %bb.16:
	v_add_co_u32_e32 v2, vcc, 0x2000, v2
	v_addc_co_u32_e32 v3, vcc, 0, v3, vcc
	global_load_dwordx4 v[8:11], v[2:3], off offset:768
	ds_read_b128 v[4:7], v116 offset:8960
	s_waitcnt vmcnt(0) lgkmcnt(0)
	v_mul_f64 v[2:3], v[6:7], v[10:11]
	v_fma_f64 v[2:3], v[4:5], v[8:9], -v[2:3]
	v_mul_f64 v[4:5], v[4:5], v[10:11]
	v_fma_f64 v[4:5], v[6:7], v[8:9], v[4:5]
	global_load_dwordx4 v[6:9], v[0:1], off offset:1984
	ds_write_b128 v116, v[2:5] offset:8960
	ds_read_b128 v[2:5], v116 offset:18368
	s_waitcnt vmcnt(0) lgkmcnt(0)
	v_mul_f64 v[0:1], v[4:5], v[8:9]
	v_fma_f64 v[0:1], v[2:3], v[6:7], -v[0:1]
	v_mul_f64 v[2:3], v[2:3], v[8:9]
	v_fma_f64 v[2:3], v[4:5], v[6:7], v[2:3]
	ds_write_b128 v116, v[0:3] offset:18368
.LBB0_17:
	s_or_b64 exec, exec, s[2:3]
	s_waitcnt lgkmcnt(0)
	; wave barrier
	s_waitcnt lgkmcnt(0)
	ds_read_b128 v[252:255], v116
	ds_read_b128 v[56:59], v116 offset:896
	ds_read_b128 v[68:71], v116 offset:9408
	;; [unrolled: 1-line block ×19, first 2 shown]
	s_and_saveexec_b64 s[2:3], s[0:1]
	s_cbranch_execz .LBB0_19
; %bb.18:
	ds_read_b128 v[244:247], v116 offset:8960
	ds_read_b128 v[72:75], v116 offset:18368
	s_waitcnt lgkmcnt(0)
	buffer_store_dword v72, off, s[36:39], 0 offset:4 ; 4-byte Folded Spill
	s_nop 0
	buffer_store_dword v73, off, s[36:39], 0 offset:8 ; 4-byte Folded Spill
	buffer_store_dword v74, off, s[36:39], 0 offset:12 ; 4-byte Folded Spill
	;; [unrolled: 1-line block ×3, first 2 shown]
.LBB0_19:
	s_or_b64 exec, exec, s[2:3]
	s_waitcnt lgkmcnt(0)
	v_add_f64 v[96:97], v[8:9], -v[12:13]
	v_add_f64 v[98:99], v[10:11], -v[14:15]
	buffer_load_dword v12, off, s[36:39], 0 offset:4 ; 4-byte Folded Reload
	buffer_load_dword v13, off, s[36:39], 0 offset:8 ; 4-byte Folded Reload
	;; [unrolled: 1-line block ×4, first 2 shown]
	s_waitcnt lgkmcnt(0)
	; wave barrier
	buffer_load_dword v104, off, s[36:39], 0 offset:364 ; 4-byte Folded Reload
	v_add_f64 v[68:69], v[252:253], -v[68:69]
	v_add_f64 v[70:71], v[254:255], -v[70:71]
	;; [unrolled: 1-line block ×8, first 2 shown]
	v_fma_f64 v[72:73], v[252:253], 2.0, -v[68:69]
	v_fma_f64 v[74:75], v[254:255], 2.0, -v[70:71]
	;; [unrolled: 1-line block ×8, first 2 shown]
	v_add_f64 v[44:45], v[32:33], -v[44:45]
	v_add_f64 v[46:47], v[34:35], -v[46:47]
	;; [unrolled: 1-line block ×8, first 2 shown]
	v_fma_f64 v[32:33], v[32:33], 2.0, -v[44:45]
	v_fma_f64 v[34:35], v[34:35], 2.0, -v[46:47]
	;; [unrolled: 1-line block ×8, first 2 shown]
	v_add_f64 v[16:17], v[4:5], -v[16:17]
	v_add_f64 v[18:19], v[6:7], -v[18:19]
	v_fma_f64 v[8:9], v[8:9], 2.0, -v[96:97]
	v_fma_f64 v[10:11], v[10:11], 2.0, -v[98:99]
	s_waitcnt vmcnt(0)
	ds_write_b128 v104, v[72:75]
	ds_write_b128 v104, v[68:71] offset:16
	buffer_load_dword v68, off, s[36:39], 0 offset:368 ; 4-byte Folded Reload
	v_fma_f64 v[4:5], v[4:5], 2.0, -v[16:17]
	v_fma_f64 v[6:7], v[6:7], 2.0, -v[18:19]
	v_add_f64 v[12:13], v[244:245], -v[12:13]
	v_add_f64 v[14:15], v[246:247], -v[14:15]
	s_waitcnt vmcnt(0)
	ds_write_b128 v68, v[56:59]
	ds_write_b128 v68, v[64:67] offset:16
	buffer_load_dword v56, off, s[36:39], 0 offset:372 ; 4-byte Folded Reload
	v_fma_f64 v[0:1], v[244:245], 2.0, -v[12:13]
	v_fma_f64 v[2:3], v[246:247], 2.0, -v[14:15]
	s_waitcnt vmcnt(0)
	ds_write_b128 v56, v[52:55]
	ds_write_b128 v56, v[60:63] offset:16
	buffer_load_dword v52, off, s[36:39], 0 offset:376 ; 4-byte Folded Reload
	s_waitcnt vmcnt(0)
	ds_write_b128 v52, v[28:31]
	ds_write_b128 v52, v[48:51] offset:16
	buffer_load_dword v28, off, s[36:39], 0 offset:380 ; 4-byte Folded Reload
	;; [unrolled: 4-line block ×7, first 2 shown]
	s_waitcnt vmcnt(0)
	ds_write_b128 v4, v[8:11]
	ds_write_b128 v4, v[96:99] offset:16
	s_and_saveexec_b64 s[2:3], s[0:1]
	s_cbranch_execz .LBB0_21
; %bb.20:
	buffer_load_dword v4, off, s[36:39], 0 offset:612 ; 4-byte Folded Reload
	s_waitcnt vmcnt(0)
	ds_write_b128 v4, v[0:3]
	ds_write_b128 v4, v[12:15] offset:16
.LBB0_21:
	s_or_b64 exec, exec, s[2:3]
	s_waitcnt lgkmcnt(0)
	; wave barrier
	s_waitcnt lgkmcnt(0)
	ds_read_b128 v[28:31], v116
	ds_read_b128 v[24:27], v116 offset:896
	ds_read_b128 v[68:71], v116 offset:9408
	;; [unrolled: 1-line block ×19, first 2 shown]
	s_and_saveexec_b64 s[2:3], s[0:1]
	s_cbranch_execz .LBB0_23
; %bb.22:
	ds_read_b128 v[0:3], v116 offset:8960
	ds_read_b128 v[12:15], v116 offset:18368
.LBB0_23:
	s_or_b64 exec, exec, s[2:3]
	s_waitcnt lgkmcnt(14)
	v_mul_f64 v[72:73], v[82:83], v[70:71]
	s_waitcnt lgkmcnt(0)
	; wave barrier
	s_waitcnt lgkmcnt(0)
	v_fma_f64 v[72:73], v[80:81], v[68:69], v[72:73]
	v_mul_f64 v[68:69], v[82:83], v[68:69]
	v_fma_f64 v[68:69], v[80:81], v[70:71], -v[68:69]
	v_mul_f64 v[70:71], v[82:83], v[66:67]
	v_fma_f64 v[70:71], v[80:81], v[64:65], v[70:71]
	v_mul_f64 v[64:65], v[82:83], v[64:65]
	v_fma_f64 v[64:65], v[80:81], v[66:67], -v[64:65]
	v_mul_f64 v[66:67], v[82:83], v[62:63]
	v_fma_f64 v[66:67], v[80:81], v[60:61], v[66:67]
	v_mul_f64 v[60:61], v[82:83], v[60:61]
	v_fma_f64 v[60:61], v[80:81], v[62:63], -v[60:61]
	v_mul_f64 v[62:63], v[82:83], v[58:59]
	v_fma_f64 v[62:63], v[80:81], v[56:57], v[62:63]
	v_mul_f64 v[56:57], v[82:83], v[56:57]
	v_fma_f64 v[56:57], v[80:81], v[58:59], -v[56:57]
	v_mul_f64 v[58:59], v[82:83], v[54:55]
	v_fma_f64 v[58:59], v[80:81], v[52:53], v[58:59]
	v_mul_f64 v[52:53], v[82:83], v[52:53]
	v_fma_f64 v[54:55], v[80:81], v[54:55], -v[52:53]
	v_mul_f64 v[52:53], v[82:83], v[50:51]
	v_add_f64 v[54:55], v[246:247], -v[54:55]
	v_fma_f64 v[74:75], v[80:81], v[48:49], v[52:53]
	v_mul_f64 v[48:49], v[82:83], v[48:49]
	v_add_f64 v[52:53], v[244:245], -v[58:59]
	v_fma_f64 v[58:59], v[246:247], 2.0, -v[54:55]
	v_fma_f64 v[76:77], v[80:81], v[50:51], -v[48:49]
	v_mul_f64 v[48:49], v[82:83], v[46:47]
	v_fma_f64 v[78:79], v[80:81], v[44:45], v[48:49]
	v_mul_f64 v[44:45], v[82:83], v[44:45]
	v_fma_f64 v[96:97], v[80:81], v[46:47], -v[44:45]
	v_mul_f64 v[44:45], v[82:83], v[42:43]
	v_add_f64 v[46:47], v[250:251], -v[56:57]
	v_fma_f64 v[56:57], v[244:245], 2.0, -v[52:53]
	v_fma_f64 v[98:99], v[80:81], v[40:41], v[44:45]
	v_mul_f64 v[40:41], v[82:83], v[40:41]
	v_add_f64 v[44:45], v[248:249], -v[62:63]
	v_fma_f64 v[50:51], v[250:251], 2.0, -v[46:47]
	v_add_f64 v[62:63], v[174:175], -v[76:77]
	v_fma_f64 v[104:105], v[80:81], v[42:43], -v[40:41]
	v_mul_f64 v[40:41], v[82:83], v[38:39]
	v_fma_f64 v[48:49], v[248:249], 2.0, -v[44:45]
	v_fma_f64 v[106:107], v[80:81], v[36:37], v[40:41]
	v_mul_f64 v[36:37], v[82:83], v[36:37]
	v_add_f64 v[76:77], v[8:9], -v[106:107]
	v_fma_f64 v[108:109], v[80:81], v[38:39], -v[36:37]
	v_add_f64 v[38:39], v[254:255], -v[60:61]
	v_add_f64 v[60:61], v[172:173], -v[74:75]
	;; [unrolled: 1-line block ×3, first 2 shown]
	buffer_load_dword v104, off, s[36:39], 0 offset:404 ; 4-byte Folded Reload
	v_mul_f64 v[36:37], v[82:83], v[34:35]
	v_fma_f64 v[8:9], v[8:9], 2.0, -v[76:77]
	v_fma_f64 v[42:43], v[254:255], 2.0, -v[38:39]
	;; [unrolled: 1-line block ×3, first 2 shown]
	v_fma_f64 v[110:111], v[80:81], v[32:33], v[36:37]
	v_mul_f64 v[32:33], v[82:83], v[32:33]
	v_add_f64 v[36:37], v[252:253], -v[66:67]
	v_fma_f64 v[66:67], v[174:175], 2.0, -v[62:63]
	v_fma_f64 v[117:118], v[80:81], v[34:35], -v[32:33]
	v_mul_f64 v[32:33], v[82:83], v[14:15]
	v_add_f64 v[34:35], v[26:27], -v[64:65]
	v_fma_f64 v[40:41], v[252:253], 2.0, -v[36:37]
	v_fma_f64 v[64:65], v[172:173], 2.0, -v[60:61]
	v_fma_f64 v[112:113], v[80:81], v[12:13], v[32:33]
	v_mul_f64 v[12:13], v[82:83], v[12:13]
	v_add_f64 v[32:33], v[24:25], -v[70:71]
	v_fma_f64 v[26:27], v[26:27], 2.0, -v[34:35]
	v_add_f64 v[70:71], v[22:23], -v[96:97]
	v_add_f64 v[82:83], v[6:7], -v[117:118]
	v_fma_f64 v[114:115], v[80:81], v[14:15], -v[12:13]
	v_add_f64 v[12:13], v[28:29], -v[72:73]
	v_add_f64 v[14:15], v[30:31], -v[68:69]
	v_fma_f64 v[24:25], v[24:25], 2.0, -v[32:33]
	v_add_f64 v[68:69], v[20:21], -v[78:79]
	v_fma_f64 v[22:23], v[22:23], 2.0, -v[70:71]
	v_add_f64 v[72:73], v[16:17], -v[98:99]
	v_add_f64 v[78:79], v[10:11], -v[108:109]
	;; [unrolled: 1-line block ×3, first 2 shown]
	v_fma_f64 v[28:29], v[28:29], 2.0, -v[12:13]
	v_fma_f64 v[30:31], v[30:31], 2.0, -v[14:15]
	;; [unrolled: 1-line block ×4, first 2 shown]
	v_add_f64 v[6:7], v[2:3], -v[114:115]
	v_fma_f64 v[16:17], v[16:17], 2.0, -v[72:73]
	v_fma_f64 v[10:11], v[10:11], 2.0, -v[78:79]
	;; [unrolled: 1-line block ×3, first 2 shown]
	v_add_f64 v[4:5], v[0:1], -v[112:113]
	s_waitcnt vmcnt(0)
	ds_write_b128 v104, v[28:31]
	ds_write_b128 v104, v[12:15] offset:32
	buffer_load_dword v12, off, s[36:39], 0 offset:408 ; 4-byte Folded Reload
	v_fma_f64 v[0:1], v[0:1], 2.0, -v[4:5]
	v_fma_f64 v[2:3], v[2:3], 2.0, -v[6:7]
	s_waitcnt vmcnt(0)
	ds_write_b128 v12, v[24:27]
	ds_write_b128 v12, v[32:35] offset:32
	buffer_load_dword v12, off, s[36:39], 0 offset:416 ; 4-byte Folded Reload
	s_waitcnt vmcnt(0)
	ds_write_b128 v12, v[40:43]
	ds_write_b128 v12, v[36:39] offset:32
	buffer_load_dword v12, off, s[36:39], 0 offset:412 ; 4-byte Folded Reload
	;; [unrolled: 4-line block ×8, first 2 shown]
	s_waitcnt vmcnt(0)
	ds_write_b128 v8, v[96:99]
	ds_write_b128 v8, v[80:83] offset:32
	s_and_saveexec_b64 s[2:3], s[0:1]
	s_cbranch_execz .LBB0_25
; %bb.24:
	buffer_load_dword v8, off, s[36:39], 0 offset:604 ; 4-byte Folded Reload
	buffer_load_dword v9, off, s[36:39], 0  ; 4-byte Folded Reload
	s_movk_i32 s4, 0x4fc
	s_waitcnt vmcnt(0)
	v_and_or_b32 v8, v9, s4, v8
	v_lshlrev_b32_e32 v8, 4, v8
	ds_write_b128 v8, v[0:3]
	ds_write_b128 v8, v[4:7] offset:32
.LBB0_25:
	s_or_b64 exec, exec, s[2:3]
	s_waitcnt lgkmcnt(0)
	; wave barrier
	s_waitcnt lgkmcnt(0)
	ds_read_b128 v[28:31], v116
	ds_read_b128 v[24:27], v116 offset:896
	ds_read_b128 v[64:67], v116 offset:9408
	ds_read_b128 v[60:63], v116 offset:10304
	ds_read_b128 v[248:251], v116 offset:1792
	ds_read_b128 v[244:247], v116 offset:2688
	ds_read_b128 v[56:59], v116 offset:11200
	ds_read_b128 v[52:55], v116 offset:12096
	ds_read_b128 v[172:175], v116 offset:3584
	ds_read_b128 v[80:83], v116 offset:4480
	ds_read_b128 v[48:51], v116 offset:12992
	ds_read_b128 v[44:47], v116 offset:13888
	ds_read_b128 v[20:23], v116 offset:5376
	ds_read_b128 v[16:19], v116 offset:6272
	ds_read_b128 v[40:43], v116 offset:14784
	ds_read_b128 v[36:39], v116 offset:15680
	ds_read_b128 v[12:15], v116 offset:7168
	ds_read_b128 v[8:11], v116 offset:8064
	ds_read_b128 v[252:255], v116 offset:16576
	ds_read_b128 v[32:35], v116 offset:17472
	s_and_saveexec_b64 s[2:3], s[0:1]
	s_cbranch_execz .LBB0_27
; %bb.26:
	ds_read_b128 v[0:3], v116 offset:8960
	ds_read_b128 v[4:7], v116 offset:18368
.LBB0_27:
	s_or_b64 exec, exec, s[2:3]
	s_waitcnt lgkmcnt(14)
	v_mul_f64 v[68:69], v[86:87], v[66:67]
	s_waitcnt lgkmcnt(0)
	; wave barrier
	s_waitcnt lgkmcnt(0)
	v_fma_f64 v[68:69], v[84:85], v[64:65], v[68:69]
	v_mul_f64 v[64:65], v[86:87], v[64:65]
	v_fma_f64 v[64:65], v[84:85], v[66:67], -v[64:65]
	v_mul_f64 v[66:67], v[86:87], v[62:63]
	v_fma_f64 v[66:67], v[84:85], v[60:61], v[66:67]
	v_mul_f64 v[60:61], v[86:87], v[60:61]
	v_fma_f64 v[60:61], v[84:85], v[62:63], -v[60:61]
	v_mul_f64 v[62:63], v[86:87], v[58:59]
	;; [unrolled: 4-line block ×5, first 2 shown]
	v_add_f64 v[50:51], v[246:247], -v[52:53]
	v_fma_f64 v[74:75], v[84:85], v[44:45], v[48:49]
	v_mul_f64 v[44:45], v[86:87], v[44:45]
	v_add_f64 v[48:49], v[244:245], -v[58:59]
	v_add_f64 v[58:59], v[174:175], -v[72:73]
	v_fma_f64 v[54:55], v[246:247], 2.0, -v[50:51]
	v_fma_f64 v[76:77], v[84:85], v[46:47], -v[44:45]
	v_mul_f64 v[44:45], v[86:87], v[42:43]
	v_fma_f64 v[52:53], v[244:245], 2.0, -v[48:49]
	v_fma_f64 v[78:79], v[84:85], v[40:41], v[44:45]
	v_mul_f64 v[40:41], v[86:87], v[40:41]
	v_add_f64 v[72:73], v[20:21], -v[78:79]
	v_fma_f64 v[96:97], v[84:85], v[42:43], -v[40:41]
	v_mul_f64 v[40:41], v[86:87], v[38:39]
	v_add_f64 v[42:43], v[250:251], -v[56:57]
	v_add_f64 v[56:57], v[172:173], -v[70:71]
	v_fma_f64 v[20:21], v[20:21], 2.0, -v[72:73]
	v_fma_f64 v[98:99], v[84:85], v[36:37], v[40:41]
	v_mul_f64 v[36:37], v[86:87], v[36:37]
	v_add_f64 v[40:41], v[248:249], -v[62:63]
	v_fma_f64 v[46:47], v[250:251], 2.0, -v[42:43]
	v_fma_f64 v[62:63], v[174:175], 2.0, -v[58:59]
	v_fma_f64 v[104:105], v[84:85], v[38:39], -v[36:37]
	v_mul_f64 v[36:37], v[86:87], v[254:255]
	v_add_f64 v[38:39], v[26:27], -v[60:61]
	v_fma_f64 v[44:45], v[248:249], 2.0, -v[40:41]
	v_fma_f64 v[60:61], v[172:173], 2.0, -v[56:57]
	v_add_f64 v[78:79], v[18:19], -v[104:105]
	buffer_load_dword v104, off, s[36:39], 0 offset:448 ; 4-byte Folded Reload
	v_fma_f64 v[106:107], v[84:85], v[252:253], v[36:37]
	v_mul_f64 v[36:37], v[86:87], v[252:253]
	v_fma_f64 v[26:27], v[26:27], 2.0, -v[38:39]
	v_fma_f64 v[18:19], v[18:19], 2.0, -v[78:79]
	v_fma_f64 v[108:109], v[84:85], v[254:255], -v[36:37]
	v_mul_f64 v[36:37], v[86:87], v[34:35]
	v_fma_f64 v[110:111], v[84:85], v[32:33], v[36:37]
	v_mul_f64 v[32:33], v[86:87], v[32:33]
	v_add_f64 v[36:37], v[24:25], -v[66:67]
	v_add_f64 v[66:67], v[82:83], -v[76:77]
	;; [unrolled: 1-line block ×3, first 2 shown]
	v_fma_f64 v[112:113], v[84:85], v[34:35], -v[32:33]
	v_add_f64 v[32:33], v[28:29], -v[68:69]
	v_add_f64 v[34:35], v[30:31], -v[64:65]
	v_fma_f64 v[24:25], v[24:25], 2.0, -v[36:37]
	v_add_f64 v[64:65], v[80:81], -v[74:75]
	v_fma_f64 v[70:71], v[82:83], 2.0, -v[66:67]
	;; [unrolled: 2-line block ×4, first 2 shown]
	v_fma_f64 v[30:31], v[30:31], 2.0, -v[34:35]
	v_add_f64 v[96:97], v[8:9], -v[110:111]
	v_fma_f64 v[68:69], v[80:81], 2.0, -v[64:65]
	v_add_f64 v[80:81], v[12:13], -v[106:107]
	;; [unrolled: 2-line block ×3, first 2 shown]
	v_fma_f64 v[14:15], v[14:15], 2.0, -v[82:83]
	s_waitcnt vmcnt(0)
	ds_write_b128 v104, v[28:31]
	ds_write_b128 v104, v[32:35] offset:64
	buffer_load_dword v28, off, s[36:39], 0 offset:452 ; 4-byte Folded Reload
	v_fma_f64 v[12:13], v[12:13], 2.0, -v[80:81]
	v_fma_f64 v[8:9], v[8:9], 2.0, -v[96:97]
	;; [unrolled: 1-line block ×3, first 2 shown]
	s_waitcnt vmcnt(0)
	ds_write_b128 v28, v[24:27]
	ds_write_b128 v28, v[36:39] offset:64
	buffer_load_dword v24, off, s[36:39], 0 offset:460 ; 4-byte Folded Reload
	s_waitcnt vmcnt(0)
	ds_write_b128 v24, v[44:47]
	ds_write_b128 v24, v[40:43] offset:64
	buffer_load_dword v24, off, s[36:39], 0 offset:456 ; 4-byte Folded Reload
	;; [unrolled: 4-line block ×8, first 2 shown]
	s_waitcnt vmcnt(0)
	ds_write_b128 v12, v[8:11]
	ds_write_b128 v12, v[96:99] offset:64
	s_and_saveexec_b64 s[2:3], s[0:1]
	s_cbranch_execz .LBB0_29
; %bb.28:
	v_mul_f64 v[8:9], v[86:87], v[4:5]
	v_mul_f64 v[10:11], v[86:87], v[6:7]
	s_movk_i32 s4, 0x4f8
	v_fma_f64 v[6:7], v[84:85], v[6:7], -v[8:9]
	buffer_load_dword v8, off, s[36:39], 0  ; 4-byte Folded Reload
	buffer_load_dword v9, off, s[36:39], 0 offset:608 ; 4-byte Folded Reload
	v_fma_f64 v[4:5], v[84:85], v[4:5], v[10:11]
	v_add_f64 v[6:7], v[2:3], -v[6:7]
	v_add_f64 v[4:5], v[0:1], -v[4:5]
	v_fma_f64 v[2:3], v[2:3], 2.0, -v[6:7]
	v_fma_f64 v[0:1], v[0:1], 2.0, -v[4:5]
	s_waitcnt vmcnt(0)
	v_and_or_b32 v8, v8, s4, v9
	v_lshlrev_b32_e32 v8, 4, v8
	ds_write_b128 v8, v[0:3]
	ds_write_b128 v8, v[4:7] offset:64
.LBB0_29:
	s_or_b64 exec, exec, s[2:3]
	s_waitcnt lgkmcnt(0)
	; wave barrier
	s_waitcnt lgkmcnt(0)
	ds_read_b128 v[4:7], v116 offset:6272
	ds_read_b128 v[0:3], v116 offset:5376
	s_mov_b32 s2, 0xe8584caa
	s_mov_b32 s3, 0xbfebb67a
	;; [unrolled: 1-line block ×3, first 2 shown]
	s_waitcnt lgkmcnt(1)
	v_mul_f64 v[8:9], v[94:95], v[6:7]
	s_mov_b32 s4, s2
	s_mov_b32 s12, 0x5476071b
	;; [unrolled: 1-line block ×7, first 2 shown]
	v_fma_f64 v[12:13], v[92:93], v[4:5], v[8:9]
	v_mul_f64 v[4:5], v[94:95], v[4:5]
	s_mov_b32 s23, 0x3fe11646
	s_mov_b32 s17, 0xbfebfeb5
	;; [unrolled: 1-line block ×7, first 2 shown]
	v_fma_f64 v[14:15], v[92:93], v[6:7], -v[4:5]
	ds_read_b128 v[4:7], v116 offset:7168
	ds_read_b128 v[8:11], v116 offset:8064
	s_mov_b32 s27, 0xbff2aaaa
	s_mov_b32 s24, 0x37c3f68c
	;; [unrolled: 1-line block ×3, first 2 shown]
	s_waitcnt lgkmcnt(1)
	v_mul_f64 v[16:17], v[94:95], v[6:7]
	v_fma_f64 v[36:37], v[92:93], v[4:5], v[16:17]
	v_mul_f64 v[4:5], v[94:95], v[4:5]
	v_fma_f64 v[38:39], v[92:93], v[6:7], -v[4:5]
	s_waitcnt lgkmcnt(0)
	v_mul_f64 v[4:5], v[94:95], v[10:11]
	v_fma_f64 v[40:41], v[92:93], v[8:9], v[4:5]
	v_mul_f64 v[4:5], v[94:95], v[8:9]
	v_fma_f64 v[42:43], v[92:93], v[10:11], -v[4:5]
	ds_read_b128 v[4:7], v116 offset:8960
	ds_read_b128 v[8:11], v116 offset:9856
	s_waitcnt lgkmcnt(1)
	v_mul_f64 v[16:17], v[94:95], v[6:7]
	v_fma_f64 v[44:45], v[92:93], v[4:5], v[16:17]
	v_mul_f64 v[4:5], v[94:95], v[4:5]
	v_fma_f64 v[46:47], v[92:93], v[6:7], -v[4:5]
	s_waitcnt lgkmcnt(0)
	v_mul_f64 v[4:5], v[94:95], v[10:11]
	v_fma_f64 v[48:49], v[92:93], v[8:9], v[4:5]
	v_mul_f64 v[4:5], v[94:95], v[8:9]
	v_fma_f64 v[50:51], v[92:93], v[10:11], -v[4:5]
	ds_read_b128 v[4:7], v116 offset:10752
	ds_read_b128 v[8:11], v116 offset:11648
	;; [unrolled: 12-line block ×3, first 2 shown]
	s_waitcnt lgkmcnt(1)
	v_mul_f64 v[16:17], v[90:91], v[6:7]
	v_fma_f64 v[16:17], v[88:89], v[4:5], v[16:17]
	v_mul_f64 v[4:5], v[90:91], v[4:5]
	v_fma_f64 v[18:19], v[88:89], v[6:7], -v[4:5]
	s_waitcnt lgkmcnt(0)
	v_mul_f64 v[4:5], v[90:91], v[10:11]
	v_add_f64 v[22:23], v[14:15], v[18:19]
	v_fma_f64 v[60:61], v[88:89], v[8:9], v[4:5]
	v_mul_f64 v[4:5], v[90:91], v[8:9]
	v_fma_f64 v[62:63], v[88:89], v[10:11], -v[4:5]
	ds_read_b128 v[4:7], v116 offset:14336
	ds_read_b128 v[8:11], v116 offset:15232
	s_waitcnt lgkmcnt(1)
	v_mul_f64 v[20:21], v[90:91], v[6:7]
	v_fma_f64 v[64:65], v[88:89], v[4:5], v[20:21]
	v_mul_f64 v[4:5], v[90:91], v[4:5]
	v_fma_f64 v[66:67], v[88:89], v[6:7], -v[4:5]
	s_waitcnt lgkmcnt(0)
	v_mul_f64 v[4:5], v[90:91], v[10:11]
	v_fma_f64 v[68:69], v[88:89], v[8:9], v[4:5]
	v_mul_f64 v[4:5], v[90:91], v[8:9]
	v_fma_f64 v[70:71], v[88:89], v[10:11], -v[4:5]
	ds_read_b128 v[4:7], v116 offset:16128
	ds_read_b128 v[8:11], v116 offset:17024
	s_waitcnt lgkmcnt(1)
	v_mul_f64 v[20:21], v[90:91], v[6:7]
	v_fma_f64 v[72:73], v[88:89], v[4:5], v[20:21]
	v_mul_f64 v[4:5], v[90:91], v[4:5]
	v_add_f64 v[20:21], v[12:13], v[16:17]
	v_fma_f64 v[74:75], v[88:89], v[6:7], -v[4:5]
	s_waitcnt lgkmcnt(0)
	v_mul_f64 v[4:5], v[90:91], v[10:11]
	v_fma_f64 v[76:77], v[88:89], v[8:9], v[4:5]
	v_mul_f64 v[4:5], v[90:91], v[8:9]
	v_fma_f64 v[78:79], v[88:89], v[10:11], -v[4:5]
	ds_read_b128 v[4:7], v116 offset:17920
	s_waitcnt lgkmcnt(0)
	v_mul_f64 v[8:9], v[90:91], v[6:7]
	v_fma_f64 v[80:81], v[88:89], v[4:5], v[8:9]
	v_mul_f64 v[4:5], v[90:91], v[4:5]
	v_fma_f64 v[82:83], v[88:89], v[6:7], -v[4:5]
	ds_read_b128 v[4:7], v116
	ds_read_b128 v[8:11], v116 offset:896
	s_waitcnt lgkmcnt(1)
	v_fma_f64 v[22:23], v[22:23], -0.5, v[6:7]
	v_add_f64 v[6:7], v[6:7], v[14:15]
	v_fma_f64 v[20:21], v[20:21], -0.5, v[4:5]
	v_add_f64 v[4:5], v[4:5], v[12:13]
	v_add_f64 v[14:15], v[14:15], -v[18:19]
	v_add_f64 v[6:7], v[6:7], v[18:19]
	v_add_f64 v[18:19], v[12:13], -v[16:17]
	v_add_f64 v[4:5], v[4:5], v[16:17]
	v_fma_f64 v[12:13], v[14:15], s[2:3], v[20:21]
	v_fma_f64 v[16:17], v[14:15], s[4:5], v[20:21]
	;; [unrolled: 1-line block ×4, first 2 shown]
	ds_read_b128 v[20:23], v116 offset:1792
	ds_read_b128 v[24:27], v116 offset:2688
	;; [unrolled: 1-line block ×4, first 2 shown]
	s_waitcnt lgkmcnt(0)
	; wave barrier
	s_waitcnt lgkmcnt(0)
	buffer_load_dword v84, off, s[36:39], 0 offset:576 ; 4-byte Folded Reload
	s_waitcnt vmcnt(0)
	ds_write_b128 v84, v[4:7]
	ds_write_b128 v84, v[12:15] offset:128
	ds_write_b128 v84, v[16:19] offset:256
	v_add_f64 v[4:5], v[36:37], v[60:61]
	v_add_f64 v[16:17], v[36:37], -v[60:61]
	v_fma_f64 v[12:13], v[4:5], -0.5, v[8:9]
	v_add_f64 v[4:5], v[38:39], v[62:63]
	v_add_f64 v[8:9], v[8:9], v[36:37]
	v_fma_f64 v[14:15], v[4:5], -0.5, v[10:11]
	v_add_f64 v[4:5], v[10:11], v[38:39]
	v_add_f64 v[10:11], v[38:39], -v[62:63]
	v_add_f64 v[6:7], v[4:5], v[62:63]
	v_add_f64 v[4:5], v[8:9], v[60:61]
	v_fma_f64 v[8:9], v[10:11], s[2:3], v[12:13]
	v_fma_f64 v[12:13], v[10:11], s[4:5], v[12:13]
	v_fma_f64 v[10:11], v[16:17], s[4:5], v[14:15]
	v_fma_f64 v[14:15], v[16:17], s[2:3], v[14:15]
	buffer_load_dword v16, off, s[36:39], 0 offset:572 ; 4-byte Folded Reload
	s_waitcnt vmcnt(0)
	ds_write_b128 v16, v[4:7]
	ds_write_b128 v16, v[8:11] offset:128
	ds_write_b128 v16, v[12:15] offset:256
	v_add_f64 v[4:5], v[40:41], v[64:65]
	v_add_f64 v[8:9], v[20:21], v[40:41]
	v_add_f64 v[12:13], v[42:43], -v[66:67]
	v_add_f64 v[16:17], v[40:41], -v[64:65]
	v_fma_f64 v[10:11], v[4:5], -0.5, v[20:21]
	v_add_f64 v[4:5], v[42:43], v[66:67]
	v_add_f64 v[20:21], v[58:59], -v[82:83]
	v_fma_f64 v[14:15], v[4:5], -0.5, v[22:23]
	v_add_f64 v[4:5], v[22:23], v[42:43]
	v_add_f64 v[6:7], v[4:5], v[66:67]
	;; [unrolled: 1-line block ×3, first 2 shown]
	v_fma_f64 v[8:9], v[12:13], s[2:3], v[10:11]
	v_fma_f64 v[12:13], v[12:13], s[4:5], v[10:11]
	;; [unrolled: 1-line block ×4, first 2 shown]
	buffer_load_dword v16, off, s[36:39], 0 offset:568 ; 4-byte Folded Reload
	s_waitcnt vmcnt(0)
	ds_write_b128 v16, v[4:7]
	ds_write_b128 v16, v[8:11] offset:128
	ds_write_b128 v16, v[12:15] offset:256
	v_add_f64 v[4:5], v[44:45], v[68:69]
	v_add_f64 v[8:9], v[24:25], v[44:45]
	v_add_f64 v[12:13], v[46:47], -v[70:71]
	v_add_f64 v[16:17], v[44:45], -v[68:69]
	v_fma_f64 v[10:11], v[4:5], -0.5, v[24:25]
	v_add_f64 v[4:5], v[46:47], v[70:71]
	v_add_f64 v[24:25], v[56:57], -v[80:81]
	v_fma_f64 v[14:15], v[4:5], -0.5, v[26:27]
	v_add_f64 v[4:5], v[26:27], v[46:47]
	v_add_f64 v[6:7], v[4:5], v[70:71]
	v_add_f64 v[4:5], v[8:9], v[68:69]
	v_fma_f64 v[8:9], v[12:13], s[2:3], v[10:11]
	v_fma_f64 v[12:13], v[12:13], s[4:5], v[10:11]
	;; [unrolled: 1-line block ×4, first 2 shown]
	buffer_load_dword v16, off, s[36:39], 0 offset:532 ; 4-byte Folded Reload
	s_waitcnt vmcnt(0)
	ds_write_b128 v16, v[4:7]
	ds_write_b128 v16, v[8:11] offset:128
	ds_write_b128 v16, v[12:15] offset:256
	v_add_f64 v[4:5], v[48:49], v[72:73]
	v_add_f64 v[8:9], v[28:29], v[48:49]
	v_add_f64 v[12:13], v[50:51], -v[74:75]
	v_add_f64 v[16:17], v[48:49], -v[72:73]
	v_fma_f64 v[10:11], v[4:5], -0.5, v[28:29]
	v_add_f64 v[4:5], v[50:51], v[74:75]
	v_fma_f64 v[14:15], v[4:5], -0.5, v[30:31]
	v_add_f64 v[4:5], v[30:31], v[50:51]
	v_add_f64 v[6:7], v[4:5], v[74:75]
	;; [unrolled: 1-line block ×3, first 2 shown]
	v_fma_f64 v[8:9], v[12:13], s[2:3], v[10:11]
	v_fma_f64 v[12:13], v[12:13], s[4:5], v[10:11]
	;; [unrolled: 1-line block ×4, first 2 shown]
	buffer_load_dword v16, off, s[36:39], 0 offset:512 ; 4-byte Folded Reload
	s_waitcnt vmcnt(0)
	ds_write_b128 v16, v[4:7]
	ds_write_b128 v16, v[8:11] offset:128
	ds_write_b128 v16, v[12:15] offset:256
	v_add_f64 v[4:5], v[52:53], v[76:77]
	v_add_f64 v[8:9], v[32:33], v[52:53]
	v_add_f64 v[12:13], v[54:55], -v[78:79]
	v_add_f64 v[16:17], v[52:53], -v[76:77]
	v_fma_f64 v[10:11], v[4:5], -0.5, v[32:33]
	v_add_f64 v[4:5], v[54:55], v[78:79]
	v_fma_f64 v[14:15], v[4:5], -0.5, v[34:35]
	v_add_f64 v[4:5], v[34:35], v[54:55]
	v_add_f64 v[6:7], v[4:5], v[78:79]
	;; [unrolled: 1-line block ×3, first 2 shown]
	v_fma_f64 v[8:9], v[12:13], s[2:3], v[10:11]
	v_fma_f64 v[12:13], v[12:13], s[4:5], v[10:11]
	;; [unrolled: 1-line block ×4, first 2 shown]
	v_add_f64 v[16:17], v[56:57], v[80:81]
	v_fma_f64 v[18:19], v[16:17], -0.5, v[0:1]
	v_add_f64 v[16:17], v[58:59], v[82:83]
	v_add_f64 v[0:1], v[0:1], v[56:57]
	v_fma_f64 v[22:23], v[16:17], -0.5, v[2:3]
	v_fma_f64 v[16:17], v[20:21], s[2:3], v[18:19]
	v_fma_f64 v[20:21], v[20:21], s[4:5], v[18:19]
	v_add_f64 v[2:3], v[2:3], v[58:59]
	v_add_f64 v[0:1], v[0:1], v[80:81]
	v_fma_f64 v[18:19], v[24:25], s[4:5], v[22:23]
	v_fma_f64 v[22:23], v[24:25], s[2:3], v[22:23]
	buffer_load_dword v24, off, s[36:39], 0 offset:492 ; 4-byte Folded Reload
	s_waitcnt vmcnt(0)
	ds_write_b128 v24, v[4:7]
	ds_write_b128 v24, v[8:11] offset:128
	ds_write_b128 v24, v[12:15] offset:256
	buffer_load_dword v4, off, s[36:39], 0 offset:488 ; 4-byte Folded Reload
	v_add_f64 v[2:3], v[2:3], v[82:83]
	s_waitcnt vmcnt(0)
	ds_write_b128 v4, v[0:3]
	ds_write_b128 v4, v[16:19] offset:128
	ds_write_b128 v4, v[20:23] offset:256
	s_waitcnt lgkmcnt(0)
	; wave barrier
	s_waitcnt lgkmcnt(0)
	ds_read_b128 v[4:7], v116 offset:2688
	ds_read_b128 v[0:3], v116 offset:1792
	buffer_load_dword v20, off, s[36:39], 0 offset:580 ; 4-byte Folded Reload
	buffer_load_dword v21, off, s[36:39], 0 offset:584 ; 4-byte Folded Reload
	buffer_load_dword v22, off, s[36:39], 0 offset:588 ; 4-byte Folded Reload
	buffer_load_dword v23, off, s[36:39], 0 offset:592 ; 4-byte Folded Reload
	ds_read_b128 v[8:11], v116 offset:5376
	ds_read_b128 v[12:15], v116 offset:6272
	s_mov_b32 s4, 0x37e14327
	s_mov_b32 s2, 0x36b3c0b5
	;; [unrolled: 1-line block ×4, first 2 shown]
	s_waitcnt vmcnt(0) lgkmcnt(3)
	v_mul_f64 v[16:17], v[22:23], v[6:7]
	v_mul_f64 v[18:19], v[22:23], v[4:5]
	v_fma_f64 v[32:33], v[20:21], v[4:5], v[16:17]
	v_fma_f64 v[34:35], v[20:21], v[6:7], -v[18:19]
	buffer_load_dword v20, off, s[36:39], 0 offset:536 ; 4-byte Folded Reload
	buffer_load_dword v21, off, s[36:39], 0 offset:540 ; 4-byte Folded Reload
	;; [unrolled: 1-line block ×4, first 2 shown]
	ds_read_b128 v[4:7], v116 offset:8064
	s_waitcnt vmcnt(0) lgkmcnt(2)
	v_mul_f64 v[16:17], v[22:23], v[10:11]
	v_mul_f64 v[18:19], v[22:23], v[8:9]
	v_fma_f64 v[36:37], v[20:21], v[8:9], v[16:17]
	v_fma_f64 v[38:39], v[20:21], v[10:11], -v[18:19]
	ds_read_b128 v[8:11], v116 offset:7168
	buffer_load_dword v20, off, s[36:39], 0 offset:516 ; 4-byte Folded Reload
	buffer_load_dword v21, off, s[36:39], 0 offset:520 ; 4-byte Folded Reload
	;; [unrolled: 1-line block ×4, first 2 shown]
	s_waitcnt vmcnt(0) lgkmcnt(1)
	v_mul_f64 v[16:17], v[22:23], v[6:7]
	v_mul_f64 v[18:19], v[22:23], v[4:5]
	v_fma_f64 v[40:41], v[20:21], v[4:5], v[16:17]
	v_fma_f64 v[42:43], v[20:21], v[6:7], -v[18:19]
	ds_read_b128 v[4:7], v116 offset:10752
	ds_read_b128 v[16:19], v116 offset:11648
	buffer_load_dword v22, off, s[36:39], 0 offset:496 ; 4-byte Folded Reload
	buffer_load_dword v23, off, s[36:39], 0 offset:500 ; 4-byte Folded Reload
	buffer_load_dword v24, off, s[36:39], 0 offset:504 ; 4-byte Folded Reload
	buffer_load_dword v25, off, s[36:39], 0 offset:508 ; 4-byte Folded Reload
	s_waitcnt vmcnt(0) lgkmcnt(1)
	v_mul_f64 v[20:21], v[24:25], v[6:7]
	v_fma_f64 v[44:45], v[22:23], v[4:5], v[20:21]
	v_mul_f64 v[4:5], v[24:25], v[4:5]
	v_fma_f64 v[46:47], v[22:23], v[6:7], -v[4:5]
	ds_read_b128 v[4:7], v116 offset:13440
	ds_read_b128 v[20:23], v116 offset:12544
	s_waitcnt lgkmcnt(1)
	v_mul_f64 v[24:25], v[122:123], v[6:7]
	v_fma_f64 v[48:49], v[120:121], v[4:5], v[24:25]
	v_mul_f64 v[4:5], v[122:123], v[4:5]
	v_fma_f64 v[50:51], v[120:121], v[6:7], -v[4:5]
	ds_read_b128 v[4:7], v116 offset:16128
	ds_read_b128 v[24:27], v116 offset:17024
	buffer_load_dword v54, off, s[36:39], 0 offset:552 ; 4-byte Folded Reload
	buffer_load_dword v55, off, s[36:39], 0 offset:556 ; 4-byte Folded Reload
	;; [unrolled: 1-line block ×4, first 2 shown]
	s_waitcnt vmcnt(0) lgkmcnt(1)
	v_mul_f64 v[28:29], v[56:57], v[6:7]
	v_fma_f64 v[52:53], v[54:55], v[4:5], v[28:29]
	v_mul_f64 v[4:5], v[56:57], v[4:5]
	v_fma_f64 v[54:55], v[54:55], v[6:7], -v[4:5]
	ds_read_b128 v[4:7], v116 offset:3584
	ds_read_b128 v[28:31], v116 offset:4480
	s_waitcnt lgkmcnt(1)
	v_mul_f64 v[56:57], v[138:139], v[6:7]
	v_fma_f64 v[56:57], v[136:137], v[4:5], v[56:57]
	v_mul_f64 v[4:5], v[138:139], v[4:5]
	v_fma_f64 v[58:59], v[136:137], v[6:7], -v[4:5]
	v_mul_f64 v[4:5], v[130:131], v[14:15]
	v_fma_f64 v[60:61], v[128:129], v[12:13], v[4:5]
	v_mul_f64 v[4:5], v[130:131], v[12:13]
	v_fma_f64 v[62:63], v[128:129], v[14:15], -v[4:5]
	ds_read_b128 v[4:7], v116 offset:8960
	ds_read_b128 v[12:15], v116 offset:9856
	s_waitcnt lgkmcnt(1)
	v_mul_f64 v[64:65], v[126:127], v[6:7]
	v_fma_f64 v[64:65], v[124:125], v[4:5], v[64:65]
	v_mul_f64 v[4:5], v[126:127], v[4:5]
	v_fma_f64 v[66:67], v[124:125], v[6:7], -v[4:5]
	;; [unrolled: 11-line block ×3, first 2 shown]
	v_mul_f64 v[4:5], v[134:135], v[26:27]
	v_mul_f64 v[6:7], v[150:151], v[12:13]
	v_fma_f64 v[76:77], v[132:133], v[24:25], v[4:5]
	v_mul_f64 v[4:5], v[134:135], v[24:25]
	v_fma_f64 v[90:91], v[148:149], v[14:15], -v[6:7]
	v_mul_f64 v[6:7], v[146:147], v[20:21]
	v_add_f64 v[24:25], v[32:33], -v[52:53]
	v_fma_f64 v[78:79], v[132:133], v[26:27], -v[4:5]
	v_mul_f64 v[4:5], v[162:163], v[30:31]
	v_fma_f64 v[94:95], v[144:145], v[22:23], -v[6:7]
	v_add_f64 v[26:27], v[34:35], -v[54:55]
	v_fma_f64 v[80:81], v[160:161], v[28:29], v[4:5]
	v_mul_f64 v[4:5], v[162:163], v[28:29]
	v_fma_f64 v[82:83], v[160:161], v[30:31], -v[4:5]
	v_mul_f64 v[4:5], v[154:155], v[10:11]
	v_fma_f64 v[84:85], v[152:153], v[8:9], v[4:5]
	v_mul_f64 v[4:5], v[154:155], v[8:9]
	s_waitcnt lgkmcnt(0)
	v_mul_f64 v[8:9], v[166:167], v[18:19]
	v_fma_f64 v[86:87], v[152:153], v[10:11], -v[4:5]
	v_mul_f64 v[4:5], v[150:151], v[14:15]
	v_mul_f64 v[10:11], v[166:167], v[16:17]
	v_fma_f64 v[96:97], v[164:165], v[16:17], v[8:9]
	v_add_f64 v[14:15], v[34:35], v[54:55]
	v_add_f64 v[16:17], v[36:37], v[48:49]
	v_add_f64 v[34:35], v[44:45], -v[40:41]
	v_add_f64 v[54:55], v[68:69], -v[64:65]
	v_fma_f64 v[88:89], v[148:149], v[12:13], v[4:5]
	v_mul_f64 v[4:5], v[146:147], v[22:23]
	v_fma_f64 v[98:99], v[164:165], v[18:19], -v[10:11]
	v_add_f64 v[12:13], v[32:33], v[52:53]
	v_add_f64 v[18:19], v[38:39], v[50:51]
	v_add_f64 v[32:33], v[36:37], -v[48:49]
	v_add_f64 v[22:23], v[42:43], v[46:47]
	v_add_f64 v[36:37], v[38:39], -v[50:51]
	v_add_f64 v[38:39], v[46:47], -v[42:43]
	v_fma_f64 v[92:93], v[144:145], v[20:21], v[4:5]
	ds_read_b128 v[4:7], v116 offset:17920
	v_add_f64 v[20:21], v[40:41], v[44:45]
	v_add_f64 v[40:41], v[16:17], -v[12:13]
	v_add_f64 v[42:43], v[34:35], v[32:33]
	v_add_f64 v[50:51], v[64:65], v[68:69]
	s_waitcnt lgkmcnt(0)
	v_mul_f64 v[8:9], v[158:159], v[6:7]
	v_mul_f64 v[10:11], v[158:159], v[4:5]
	v_add_f64 v[44:45], v[38:39], -v[36:37]
	v_add_f64 v[52:53], v[66:67], v[70:71]
	v_fma_f64 v[100:101], v[156:157], v[4:5], v[8:9]
	v_fma_f64 v[102:103], v[156:157], v[6:7], -v[10:11]
	v_add_f64 v[4:5], v[16:17], v[12:13]
	v_add_f64 v[6:7], v[18:19], v[14:15]
	v_add_f64 v[12:13], v[12:13], -v[20:21]
	v_add_f64 v[16:17], v[20:21], -v[16:17]
	ds_read_b128 v[8:11], v116 offset:896
	v_add_f64 v[28:29], v[20:21], v[4:5]
	v_add_f64 v[30:31], v[22:23], v[6:7]
	v_add_f64 v[20:21], v[18:19], -v[14:15]
	v_add_f64 v[14:15], v[14:15], -v[22:23]
	;; [unrolled: 1-line block ×6, first 2 shown]
	v_add_f64 v[24:25], v[42:43], v[24:25]
	v_add_f64 v[42:43], v[38:39], v[36:37]
	v_add_f64 v[38:39], v[26:27], -v[38:39]
	v_add_f64 v[36:37], v[36:37], -v[26:27]
	v_mul_f64 v[12:13], v[12:13], s[4:5]
	v_mul_f64 v[14:15], v[14:15], s[4:5]
	ds_read_b128 v[4:7], v116
	buffer_load_dword v106, off, s[36:39], 0 offset:28 ; 4-byte Folded Reload
	buffer_load_dword v107, off, s[36:39], 0 offset:32 ; 4-byte Folded Reload
	s_waitcnt lgkmcnt(0)
	v_add_f64 v[26:27], v[42:43], v[26:27]
	v_mul_f64 v[42:43], v[16:17], s[2:3]
	v_add_f64 v[4:5], v[4:5], v[28:29]
	v_fma_f64 v[16:17], v[16:17], s[2:3], v[12:13]
	v_fma_f64 v[12:13], v[40:41], s[14:15], -v[12:13]
	v_add_f64 v[6:7], v[6:7], v[30:31]
	; wave barrier
	v_fma_f64 v[42:43], v[40:41], s[12:13], -v[42:43]
	v_mul_f64 v[40:41], v[18:19], s[2:3]
	v_fma_f64 v[18:19], v[18:19], s[2:3], v[14:15]
	v_fma_f64 v[14:15], v[20:21], s[14:15], -v[14:15]
	v_fma_f64 v[28:29], v[28:29], s[26:27], v[4:5]
	v_fma_f64 v[30:31], v[30:31], s[26:27], v[6:7]
	v_fma_f64 v[40:41], v[20:21], s[12:13], -v[40:41]
	v_mul_f64 v[20:21], v[22:23], s[22:23]
	v_mul_f64 v[22:23], v[32:33], s[16:17]
	v_add_f64 v[42:43], v[42:43], v[28:29]
	v_add_f64 v[46:47], v[18:19], v[30:31]
	;; [unrolled: 1-line block ×3, first 2 shown]
	v_fma_f64 v[32:33], v[32:33], s[16:17], -v[20:21]
	v_fma_f64 v[20:21], v[34:35], s[18:19], v[20:21]
	v_fma_f64 v[22:23], v[34:35], s[20:21], -v[22:23]
	v_mul_f64 v[34:35], v[44:45], s[22:23]
	v_mul_f64 v[44:45], v[36:37], s[16:17]
	v_add_f64 v[30:31], v[14:15], v[30:31]
	v_fma_f64 v[32:33], v[24:25], s[24:25], v[32:33]
	v_fma_f64 v[48:49], v[24:25], s[24:25], v[20:21]
	v_fma_f64 v[36:37], v[36:37], s[16:17], -v[34:35]
	v_fma_f64 v[34:35], v[38:39], s[18:19], v[34:35]
	v_fma_f64 v[38:39], v[38:39], s[20:21], -v[44:45]
	v_add_f64 v[44:45], v[16:17], v[28:29]
	v_add_f64 v[28:29], v[12:13], v[28:29]
	;; [unrolled: 1-line block ×3, first 2 shown]
	v_add_f64 v[14:15], v[46:47], -v[48:49]
	v_fma_f64 v[20:21], v[26:27], s[24:25], v[36:37]
	v_fma_f64 v[34:35], v[26:27], s[24:25], v[34:35]
	;; [unrolled: 1-line block ×4, first 2 shown]
	v_add_f64 v[22:23], v[40:41], -v[32:33]
	v_add_f64 v[40:41], v[60:61], v[72:73]
	v_add_f64 v[16:17], v[42:43], -v[20:21]
	v_add_f64 v[12:13], v[34:35], v[44:45]
	v_add_f64 v[20:21], v[20:21], v[42:43]
	;; [unrolled: 1-line block ×3, first 2 shown]
	v_add_f64 v[26:27], v[30:31], -v[38:39]
	v_add_f64 v[28:29], v[28:29], -v[36:37]
	v_add_f64 v[30:31], v[38:39], v[30:31]
	v_add_f64 v[32:33], v[44:45], -v[34:35]
	v_add_f64 v[34:35], v[48:49], v[46:47]
	v_add_f64 v[36:37], v[56:57], v[76:77]
	;; [unrolled: 1-line block ×4, first 2 shown]
	v_add_f64 v[48:49], v[60:61], -v[72:73]
	v_add_f64 v[44:45], v[56:57], -v[76:77]
	v_add_f64 v[46:47], v[58:59], -v[78:79]
	v_add_f64 v[60:61], v[62:63], -v[74:75]
	v_add_f64 v[62:63], v[70:71], -v[66:67]
	v_add_f64 v[56:57], v[40:41], v[36:37]
	v_add_f64 v[64:65], v[40:41], -v[36:37]
	v_add_f64 v[58:59], v[42:43], v[38:39]
	v_add_f64 v[66:67], v[54:55], v[48:49]
	v_add_f64 v[36:37], v[36:37], -v[50:51]
	v_add_f64 v[40:41], v[50:51], -v[40:41]
	v_add_f64 v[78:79], v[88:89], v[92:93]
	v_add_f64 v[68:69], v[62:63], -v[60:61]
	v_add_f64 v[56:57], v[50:51], v[56:57]
	;; [unrolled: 2-line block ×3, first 2 shown]
	v_add_f64 v[38:39], v[38:39], -v[52:53]
	v_add_f64 v[42:43], v[52:53], -v[42:43]
	;; [unrolled: 1-line block ×5, first 2 shown]
	v_add_f64 v[44:45], v[66:67], v[44:45]
	v_add_f64 v[66:67], v[62:63], v[60:61]
	v_add_f64 v[62:63], v[46:47], -v[62:63]
	v_add_f64 v[60:61], v[60:61], -v[46:47]
	v_mul_f64 v[36:37], v[36:37], s[4:5]
	v_mul_f64 v[38:39], v[38:39], s[4:5]
	v_add_f64 v[8:9], v[8:9], v[56:57]
	v_add_f64 v[10:11], v[10:11], v[58:59]
	v_add_f64 v[76:77], v[84:85], -v[96:97]
	v_add_f64 v[46:47], v[66:67], v[46:47]
	v_mul_f64 v[66:67], v[40:41], s[2:3]
	v_fma_f64 v[40:41], v[40:41], s[2:3], v[36:37]
	v_fma_f64 v[36:37], v[64:65], s[14:15], -v[36:37]
	v_fma_f64 v[56:57], v[56:57], s[26:27], v[8:9]
	v_fma_f64 v[58:59], v[58:59], s[26:27], v[10:11]
	v_fma_f64 v[66:67], v[64:65], s[12:13], -v[66:67]
	v_mul_f64 v[64:65], v[42:43], s[2:3]
	v_fma_f64 v[42:43], v[42:43], s[2:3], v[38:39]
	v_fma_f64 v[38:39], v[50:51], s[14:15], -v[38:39]
	v_add_f64 v[66:67], v[66:67], v[56:57]
	v_fma_f64 v[64:65], v[50:51], s[12:13], -v[64:65]
	v_mul_f64 v[50:51], v[52:53], s[22:23]
	v_mul_f64 v[52:53], v[48:49], s[16:17]
	v_add_f64 v[70:71], v[42:43], v[58:59]
	v_add_f64 v[64:65], v[64:65], v[58:59]
	v_fma_f64 v[48:49], v[48:49], s[16:17], -v[50:51]
	v_fma_f64 v[50:51], v[54:55], s[18:19], v[50:51]
	v_fma_f64 v[52:53], v[54:55], s[20:21], -v[52:53]
	v_mul_f64 v[54:55], v[68:69], s[22:23]
	v_mul_f64 v[68:69], v[60:61], s[16:17]
	v_fma_f64 v[48:49], v[44:45], s[24:25], v[48:49]
	v_fma_f64 v[74:75], v[44:45], s[24:25], v[50:51]
	v_fma_f64 v[60:61], v[60:61], s[16:17], -v[54:55]
	v_fma_f64 v[54:55], v[62:63], s[18:19], v[54:55]
	v_fma_f64 v[62:63], v[62:63], s[20:21], -v[68:69]
	v_add_f64 v[68:69], v[40:41], v[56:57]
	v_add_f64 v[42:43], v[48:49], v[64:65]
	v_fma_f64 v[50:51], v[46:47], s[24:25], v[60:61]
	v_fma_f64 v[72:73], v[46:47], s[24:25], v[54:55]
	v_add_f64 v[54:55], v[36:37], v[56:57]
	v_add_f64 v[56:57], v[38:39], v[58:59]
	v_fma_f64 v[58:59], v[46:47], s[24:25], v[62:63]
	v_fma_f64 v[60:61], v[44:45], s[24:25], v[52:53]
	v_add_f64 v[38:39], v[70:71], -v[74:75]
	v_add_f64 v[46:47], v[64:65], -v[48:49]
	;; [unrolled: 1-line block ×3, first 2 shown]
	v_add_f64 v[36:37], v[72:73], v[68:69]
	v_add_f64 v[44:45], v[50:51], v[66:67]
	;; [unrolled: 1-line block ×4, first 2 shown]
	v_add_f64 v[50:51], v[56:57], -v[60:61]
	v_add_f64 v[52:53], v[54:55], -v[58:59]
	v_add_f64 v[54:55], v[60:61], v[56:57]
	v_add_f64 v[56:57], v[68:69], -v[72:73]
	v_add_f64 v[58:59], v[74:75], v[70:71]
	v_add_f64 v[66:67], v[82:83], v[102:103]
	;; [unrolled: 1-line block ×4, first 2 shown]
	v_add_f64 v[72:73], v[80:81], -v[100:101]
	v_add_f64 v[80:81], v[90:91], v[94:95]
	v_add_f64 v[74:75], v[82:83], -v[102:103]
	v_add_f64 v[82:83], v[92:93], -v[88:89]
	;; [unrolled: 1-line block ×4, first 2 shown]
	v_add_f64 v[60:61], v[68:69], v[64:65]
	v_add_f64 v[62:63], v[70:71], v[66:67]
	v_add_f64 v[92:93], v[90:91], -v[86:87]
	v_add_f64 v[84:85], v[78:79], v[60:61]
	v_add_f64 v[88:89], v[80:81], v[62:63]
	v_add_f64 v[60:61], v[0:1], v[84:85]
	v_add_f64 v[62:63], v[2:3], v[88:89]
	v_add_f64 v[0:1], v[68:69], -v[64:65]
	v_add_f64 v[2:3], v[64:65], -v[78:79]
	v_add_f64 v[64:65], v[82:83], v[76:77]
	v_add_f64 v[68:69], v[78:79], -v[68:69]
	v_add_f64 v[78:79], v[70:71], -v[66:67]
	v_add_f64 v[66:67], v[66:67], -v[80:81]
	v_add_f64 v[70:71], v[80:81], -v[70:71]
	v_add_f64 v[80:81], v[82:83], -v[76:77]
	v_add_f64 v[82:83], v[72:73], -v[82:83]
	v_add_f64 v[76:77], v[76:77], -v[72:73]
	v_add_f64 v[64:65], v[64:65], v[72:73]
	v_add_f64 v[72:73], v[90:91], v[86:87]
	v_add_f64 v[90:91], v[74:75], -v[90:91]
	v_add_f64 v[86:87], v[86:87], -v[74:75]
	v_mul_f64 v[2:3], v[2:3], s[4:5]
	v_fma_f64 v[84:85], v[84:85], s[26:27], v[60:61]
	v_fma_f64 v[88:89], v[88:89], s[26:27], v[62:63]
	v_add_f64 v[72:73], v[72:73], v[74:75]
	v_mul_f64 v[74:75], v[68:69], s[2:3]
	v_fma_f64 v[68:69], v[68:69], s[2:3], v[2:3]
	v_fma_f64 v[74:75], v[0:1], s[12:13], -v[74:75]
	v_fma_f64 v[0:1], v[0:1], s[14:15], -v[2:3]
	v_mul_f64 v[2:3], v[66:67], s[4:5]
	v_mul_f64 v[66:67], v[70:71], s[2:3]
	v_fma_f64 v[70:71], v[70:71], s[2:3], v[2:3]
	v_fma_f64 v[66:67], v[78:79], s[12:13], -v[66:67]
	v_fma_f64 v[2:3], v[78:79], s[14:15], -v[2:3]
	v_mul_f64 v[78:79], v[80:81], s[22:23]
	v_mul_f64 v[80:81], v[76:77], s[16:17]
	v_add_f64 v[94:95], v[70:71], v[88:89]
	v_add_f64 v[2:3], v[2:3], v[88:89]
	v_fma_f64 v[76:77], v[76:77], s[16:17], -v[78:79]
	v_fma_f64 v[78:79], v[82:83], s[18:19], v[78:79]
	v_fma_f64 v[80:81], v[82:83], s[20:21], -v[80:81]
	v_mul_f64 v[82:83], v[92:93], s[22:23]
	v_mul_f64 v[92:93], v[86:87], s[16:17]
	v_fma_f64 v[76:77], v[64:65], s[24:25], v[76:77]
	v_fma_f64 v[80:81], v[64:65], s[24:25], v[80:81]
	v_fma_f64 v[86:87], v[86:87], s[16:17], -v[82:83]
	v_fma_f64 v[82:83], v[90:91], s[18:19], v[82:83]
	v_fma_f64 v[90:91], v[90:91], s[20:21], -v[92:93]
	v_add_f64 v[92:93], v[68:69], v[84:85]
	v_add_f64 v[68:69], v[74:75], v[84:85]
	;; [unrolled: 1-line block ×4, first 2 shown]
	s_waitcnt vmcnt(1)
	v_mad_u64_u32 v[0:1], s[28:29], s10, v106, 0
	v_fma_f64 v[96:97], v[72:73], s[24:25], v[82:83]
	v_fma_f64 v[88:89], v[72:73], s[24:25], v[90:91]
	;; [unrolled: 1-line block ×3, first 2 shown]
	v_add_f64 v[78:79], v[80:81], v[2:3]
	v_add_f64 v[66:67], v[76:77], v[74:75]
	v_add_f64 v[70:71], v[74:75], -v[76:77]
	v_add_f64 v[74:75], v[2:3], -v[80:81]
	buffer_load_dword v2, off, s[36:39], 0 offset:596 ; 4-byte Folded Reload
	s_waitcnt vmcnt(0)
	ds_write_b128 v2, v[4:7]
	ds_write_b128 v2, v[12:15] offset:384
	ds_write_b128 v2, v[24:27] offset:768
	ds_write_b128 v2, v[16:19] offset:1152
	ds_write_b128 v2, v[20:23] offset:1536
	ds_write_b128 v2, v[28:31] offset:1920
	ds_write_b128 v2, v[32:35] offset:2304
	ds_write_b128 v119, v[8:11]
	ds_write_b128 v119, v[36:39] offset:384
	ds_write_b128 v119, v[48:51] offset:768
	;; [unrolled: 1-line block ×6, first 2 shown]
	buffer_load_dword v2, off, s[36:39], 0 offset:600 ; 4-byte Folded Reload
	v_fma_f64 v[86:87], v[72:73], s[24:25], v[86:87]
	v_add_f64 v[80:81], v[96:97], v[92:93]
	v_add_f64 v[82:83], v[94:95], -v[90:91]
	v_add_f64 v[72:73], v[88:89], v[84:85]
	v_add_f64 v[76:77], v[84:85], -v[88:89]
	v_add_f64 v[84:85], v[92:93], -v[96:97]
	;; [unrolled: 1-line block ×3, first 2 shown]
	v_add_f64 v[68:69], v[86:87], v[68:69]
	v_add_f64 v[86:87], v[90:91], v[94:95]
	s_waitcnt vmcnt(0)
	ds_write_b128 v2, v[60:63]
	ds_write_b128 v2, v[80:83] offset:384
	ds_write_b128 v2, v[72:75] offset:768
	;; [unrolled: 1-line block ×6, first 2 shown]
	s_waitcnt lgkmcnt(0)
	; wave barrier
	s_waitcnt lgkmcnt(0)
	ds_read_b128 v[2:5], v116
	ds_read_b128 v[6:9], v116 offset:896
	ds_read_b128 v[10:13], v116 offset:5376
	;; [unrolled: 1-line block ×13, first 2 shown]
	s_waitcnt lgkmcnt(5)
	v_mul_f64 v[84:85], v[190:191], v[34:35]
	v_mul_f64 v[86:87], v[182:183], v[12:13]
	ds_read_b128 v[58:61], v116 offset:8960
	ds_read_b128 v[62:65], v116 offset:9856
	ds_read_b128 v[66:69], v116 offset:13440
	ds_read_b128 v[70:73], v116 offset:12544
	ds_read_b128 v[74:77], v116 offset:14336
	ds_read_b128 v[78:81], v116 offset:15232
	v_mul_f64 v[82:83], v[190:191], v[36:37]
	s_waitcnt lgkmcnt(7)
	v_mul_f64 v[88:89], v[178:179], v[50:51]
	s_waitcnt lgkmcnt(3)
	v_mul_f64 v[94:95], v[194:195], v[68:69]
	v_mul_f64 v[96:97], v[194:195], v[66:67]
	v_fma_f64 v[36:37], v[188:189], v[36:37], -v[84:85]
	v_fma_f64 v[84:85], v[180:181], v[10:11], v[86:87]
	v_mul_f64 v[86:87], v[178:179], v[52:53]
	v_mul_f64 v[90:91], v[170:171], v[20:21]
	;; [unrolled: 1-line block ×3, first 2 shown]
	v_fma_f64 v[52:53], v[176:177], v[52:53], -v[88:89]
	v_fma_f64 v[66:67], v[192:193], v[66:67], v[94:95]
	v_fma_f64 v[68:69], v[192:193], v[68:69], -v[96:97]
	v_mul_f64 v[88:89], v[186:187], v[26:27]
	v_mul_f64 v[94:95], v[206:207], v[16:17]
	v_fma_f64 v[50:51], v[176:177], v[50:51], v[86:87]
	v_mul_f64 v[86:87], v[186:187], v[28:29]
	v_mul_f64 v[96:97], v[206:207], v[14:15]
	v_fma_f64 v[34:35], v[188:189], v[34:35], v[82:83]
	v_mul_f64 v[82:83], v[182:183], v[10:11]
	v_fma_f64 v[18:19], v[168:169], v[18:19], v[90:91]
	v_fma_f64 v[20:21], v[168:169], v[20:21], -v[92:93]
	v_mul_f64 v[90:91], v[214:215], v[44:45]
	v_mul_f64 v[92:93], v[214:215], v[42:43]
	;; [unrolled: 1-line block ×4, first 2 shown]
	v_fma_f64 v[26:27], v[184:185], v[26:27], v[86:87]
	v_fma_f64 v[28:29], v[184:185], v[28:29], -v[88:89]
	v_fma_f64 v[86:87], v[204:205], v[14:15], v[94:95]
	v_fma_f64 v[88:89], v[204:205], v[16:17], -v[96:97]
	v_mul_f64 v[14:15], v[198:199], v[24:25]
	v_mul_f64 v[16:17], v[198:199], v[22:23]
	v_fma_f64 v[82:83], v[180:181], v[12:13], -v[82:83]
	v_fma_f64 v[42:43], v[212:213], v[42:43], v[90:91]
	v_fma_f64 v[44:45], v[212:213], v[44:45], -v[92:93]
	v_fma_f64 v[58:59], v[200:201], v[58:59], v[98:99]
	v_fma_f64 v[60:61], v[200:201], v[60:61], -v[100:101]
	s_waitcnt lgkmcnt(1)
	v_mul_f64 v[90:91], v[222:223], v[76:77]
	v_mul_f64 v[92:93], v[222:223], v[74:75]
	;; [unrolled: 1-line block ×4, first 2 shown]
	v_fma_f64 v[102:103], v[196:197], v[22:23], v[14:15]
	v_fma_f64 v[104:105], v[196:197], v[24:25], -v[16:17]
	v_mul_f64 v[22:23], v[230:231], v[64:65]
	v_mul_f64 v[24:25], v[230:231], v[62:63]
	v_mul_f64 v[94:95], v[210:211], v[32:33]
	v_mul_f64 v[96:97], v[210:211], v[30:31]
	v_fma_f64 v[74:75], v[220:221], v[74:75], v[90:91]
	v_fma_f64 v[76:77], v[220:221], v[76:77], -v[92:93]
	v_fma_f64 v[90:91], v[236:237], v[46:47], v[98:99]
	v_fma_f64 v[92:93], v[236:237], v[48:49], -v[100:101]
	v_mul_f64 v[14:15], v[234:235], v[56:57]
	v_mul_f64 v[16:17], v[234:235], v[54:55]
	;; [unrolled: 1-line block ×4, first 2 shown]
	v_fma_f64 v[62:63], v[228:229], v[62:63], v[22:23]
	v_fma_f64 v[64:65], v[228:229], v[64:65], -v[24:25]
	v_add_f64 v[22:23], v[34:35], v[26:27]
	v_add_f64 v[24:25], v[36:37], v[28:29]
	v_add_f64 v[26:27], v[34:35], -v[26:27]
	v_add_f64 v[28:29], v[36:37], -v[28:29]
	v_add_f64 v[34:35], v[84:85], v[66:67]
	v_add_f64 v[36:37], v[82:83], v[68:69]
	v_fma_f64 v[30:31], v[208:209], v[30:31], v[94:95]
	v_fma_f64 v[32:33], v[208:209], v[32:33], -v[96:97]
	s_waitcnt lgkmcnt(0)
	v_mul_f64 v[94:95], v[242:243], v[80:81]
	v_mul_f64 v[96:97], v[242:243], v[78:79]
	v_fma_f64 v[98:99], v[232:233], v[54:55], v[14:15]
	v_fma_f64 v[100:101], v[232:233], v[56:57], -v[16:17]
	v_fma_f64 v[70:71], v[224:225], v[70:71], v[46:47]
	v_fma_f64 v[72:73], v[224:225], v[72:73], -v[48:49]
	v_add_f64 v[46:47], v[84:85], -v[66:67]
	v_add_f64 v[48:49], v[82:83], -v[68:69]
	v_add_f64 v[54:55], v[50:51], v[18:19]
	v_add_f64 v[56:57], v[52:53], v[20:21]
	v_add_f64 v[18:19], v[18:19], -v[50:51]
	v_add_f64 v[20:21], v[20:21], -v[52:53]
	v_add_f64 v[50:51], v[34:35], v[22:23]
	v_add_f64 v[52:53], v[36:37], v[24:25]
	v_fma_f64 v[78:79], v[240:241], v[78:79], v[94:95]
	v_fma_f64 v[80:81], v[240:241], v[80:81], -v[96:97]
	v_add_f64 v[66:67], v[34:35], -v[22:23]
	v_add_f64 v[68:69], v[36:37], -v[24:25]
	;; [unrolled: 1-line block ×6, first 2 shown]
	v_add_f64 v[82:83], v[18:19], v[46:47]
	v_add_f64 v[84:85], v[20:21], v[48:49]
	v_add_f64 v[94:95], v[18:19], -v[46:47]
	v_add_f64 v[96:97], v[20:21], -v[48:49]
	v_add_f64 v[50:51], v[54:55], v[50:51]
	v_add_f64 v[52:53], v[56:57], v[52:53]
	v_add_f64 v[46:47], v[46:47], -v[26:27]
	v_add_f64 v[48:49], v[48:49], -v[28:29]
	;; [unrolled: 1-line block ×4, first 2 shown]
	v_add_f64 v[26:27], v[82:83], v[26:27]
	v_add_f64 v[28:29], v[84:85], v[28:29]
	;; [unrolled: 1-line block ×4, first 2 shown]
	v_mul_f64 v[22:23], v[22:23], s[4:5]
	v_mul_f64 v[24:25], v[24:25], s[4:5]
	;; [unrolled: 1-line block ×8, first 2 shown]
	v_fma_f64 v[50:51], v[50:51], s[26:27], v[2:3]
	v_fma_f64 v[52:53], v[52:53], s[26:27], v[4:5]
	;; [unrolled: 1-line block ×4, first 2 shown]
	v_fma_f64 v[54:55], v[66:67], s[12:13], -v[54:55]
	v_fma_f64 v[56:57], v[68:69], s[12:13], -v[56:57]
	v_fma_f64 v[22:23], v[66:67], s[14:15], -v[22:23]
	v_fma_f64 v[24:25], v[68:69], s[14:15], -v[24:25]
	v_fma_f64 v[66:67], v[18:19], s[18:19], v[82:83]
	v_fma_f64 v[68:69], v[20:21], s[18:19], v[84:85]
	v_fma_f64 v[46:47], v[46:47], s[16:17], -v[82:83]
	v_fma_f64 v[48:49], v[48:49], s[16:17], -v[84:85]
	;; [unrolled: 1-line block ×4, first 2 shown]
	ds_read_b128 v[10:13], v116 offset:17920
	v_add_f64 v[34:35], v[34:35], v[50:51]
	v_add_f64 v[36:37], v[36:37], v[52:53]
	v_add_f64 v[54:55], v[54:55], v[50:51]
	v_add_f64 v[56:57], v[56:57], v[52:53]
	s_waitcnt lgkmcnt(0)
	v_mul_f64 v[14:15], v[218:219], v[12:13]
	v_mul_f64 v[16:17], v[218:219], v[10:11]
	v_add_f64 v[50:51], v[22:23], v[50:51]
	v_add_f64 v[52:53], v[24:25], v[52:53]
	v_fma_f64 v[82:83], v[28:29], s[24:25], v[20:21]
	v_fma_f64 v[84:85], v[26:27], s[24:25], v[18:19]
	;; [unrolled: 1-line block ×4, first 2 shown]
	v_add_f64 v[46:47], v[42:43], v[30:31]
	v_add_f64 v[48:49], v[44:45], v[32:33]
	v_add_f64 v[30:31], v[42:43], -v[30:31]
	v_add_f64 v[32:33], v[44:45], -v[32:33]
	v_add_f64 v[42:43], v[86:87], v[74:75]
	v_add_f64 v[44:45], v[88:89], v[76:77]
	v_fma_f64 v[68:69], v[28:29], s[24:25], v[68:69]
	v_fma_f64 v[66:67], v[26:27], s[24:25], v[66:67]
	;; [unrolled: 1-line block ×3, first 2 shown]
	v_fma_f64 v[96:97], v[216:217], v[12:13], -v[16:17]
	v_add_f64 v[14:15], v[82:83], v[50:51]
	v_add_f64 v[16:17], v[52:53], -v[84:85]
	v_add_f64 v[18:19], v[54:55], -v[22:23]
	v_add_f64 v[20:21], v[24:25], v[56:57]
	v_add_f64 v[22:23], v[22:23], v[54:55]
	v_add_f64 v[24:25], v[56:57], -v[24:25]
	v_add_f64 v[26:27], v[50:51], -v[82:83]
	v_add_f64 v[28:29], v[84:85], v[52:53]
	v_add_f64 v[50:51], v[86:87], -v[74:75]
	v_add_f64 v[52:53], v[88:89], -v[76:77]
	v_add_f64 v[54:55], v[58:59], v[102:103]
	v_add_f64 v[56:57], v[60:61], v[104:105]
	v_add_f64 v[58:59], v[102:103], -v[58:59]
	v_add_f64 v[60:61], v[104:105], -v[60:61]
	v_add_f64 v[74:75], v[42:43], v[46:47]
	v_add_f64 v[76:77], v[44:45], v[48:49]
	v_add_f64 v[82:83], v[42:43], -v[46:47]
	v_add_f64 v[84:85], v[44:45], -v[48:49]
	;; [unrolled: 1-line block ×6, first 2 shown]
	v_add_f64 v[86:87], v[58:59], v[50:51]
	v_add_f64 v[88:89], v[60:61], v[52:53]
	v_add_f64 v[102:103], v[58:59], -v[50:51]
	v_add_f64 v[104:105], v[60:61], -v[52:53]
	v_add_f64 v[54:55], v[54:55], v[74:75]
	v_add_f64 v[56:57], v[56:57], v[76:77]
	v_add_f64 v[50:51], v[50:51], -v[30:31]
	v_add_f64 v[52:53], v[52:53], -v[32:33]
	;; [unrolled: 1-line block ×4, first 2 shown]
	v_add_f64 v[30:31], v[86:87], v[30:31]
	v_add_f64 v[32:33], v[88:89], v[32:33]
	;; [unrolled: 1-line block ×4, first 2 shown]
	v_mul_f64 v[46:47], v[46:47], s[4:5]
	v_mul_f64 v[48:49], v[48:49], s[4:5]
	;; [unrolled: 1-line block ×8, first 2 shown]
	v_fma_f64 v[54:55], v[54:55], s[26:27], v[6:7]
	v_fma_f64 v[56:57], v[56:57], s[26:27], v[8:9]
	v_fma_f64 v[42:43], v[42:43], s[2:3], v[46:47]
	v_fma_f64 v[44:45], v[44:45], s[2:3], v[48:49]
	v_fma_f64 v[74:75], v[82:83], s[12:13], -v[74:75]
	v_fma_f64 v[76:77], v[84:85], s[12:13], -v[76:77]
	;; [unrolled: 1-line block ×4, first 2 shown]
	v_fma_f64 v[82:83], v[58:59], s[18:19], v[86:87]
	v_fma_f64 v[84:85], v[60:61], s[18:19], v[88:89]
	v_fma_f64 v[50:51], v[50:51], s[16:17], -v[86:87]
	v_fma_f64 v[52:53], v[52:53], s[16:17], -v[88:89]
	v_fma_f64 v[58:59], v[58:59], s[20:21], -v[102:103]
	v_fma_f64 v[60:61], v[60:61], s[20:21], -v[104:105]
	v_add_f64 v[86:87], v[42:43], v[54:55]
	v_add_f64 v[88:89], v[44:45], v[56:57]
	;; [unrolled: 1-line block ×6, first 2 shown]
	v_fma_f64 v[58:59], v[30:31], s[24:25], v[58:59]
	v_fma_f64 v[60:61], v[32:33], s[24:25], v[60:61]
	;; [unrolled: 1-line block ×4, first 2 shown]
	v_add_f64 v[10:11], v[68:69], v[34:35]
	v_add_f64 v[12:13], v[36:37], -v[66:67]
	v_fma_f64 v[84:85], v[32:33], s[24:25], v[84:85]
	v_fma_f64 v[82:83], v[30:31], s[24:25], v[82:83]
	v_add_f64 v[44:45], v[56:57], -v[58:59]
	v_add_f64 v[42:43], v[60:61], v[54:55]
	v_add_f64 v[46:47], v[74:75], -v[52:53]
	v_add_f64 v[48:49], v[102:103], v[76:77]
	v_add_f64 v[50:51], v[52:53], v[74:75]
	v_add_f64 v[52:53], v[76:77], -v[102:103]
	v_add_f64 v[54:55], v[54:55], -v[60:61]
	v_add_f64 v[56:57], v[58:59], v[56:57]
	v_add_f64 v[58:59], v[90:91], v[94:95]
	;; [unrolled: 1-line block ×5, first 2 shown]
	v_add_f64 v[30:31], v[34:35], -v[68:69]
	v_add_f64 v[32:33], v[66:67], v[36:37]
	v_add_f64 v[66:67], v[90:91], -v[94:95]
	v_add_f64 v[68:69], v[92:93], -v[96:97]
	;; [unrolled: 1-line block ×4, first 2 shown]
	v_add_f64 v[90:91], v[62:63], v[70:71]
	v_add_f64 v[92:93], v[64:65], v[72:73]
	v_add_f64 v[62:63], v[70:71], -v[62:63]
	v_add_f64 v[64:65], v[72:73], -v[64:65]
	v_add_f64 v[70:71], v[74:75], v[58:59]
	v_add_f64 v[72:73], v[76:77], v[60:61]
	v_add_f64 v[94:95], v[74:75], -v[58:59]
	v_add_f64 v[96:97], v[76:77], -v[60:61]
	;; [unrolled: 1-line block ×6, first 2 shown]
	v_add_f64 v[98:99], v[62:63], v[78:79]
	v_add_f64 v[100:101], v[64:65], v[80:81]
	v_add_f64 v[102:103], v[62:63], -v[78:79]
	v_add_f64 v[104:105], v[64:65], -v[80:81]
	v_add_f64 v[70:71], v[90:91], v[70:71]
	v_add_f64 v[72:73], v[92:93], v[72:73]
	v_add_f64 v[78:79], v[78:79], -v[66:67]
	v_add_f64 v[80:81], v[80:81], -v[68:69]
	;; [unrolled: 1-line block ×4, first 2 shown]
	v_add_f64 v[66:67], v[98:99], v[66:67]
	v_add_f64 v[68:69], v[100:101], v[68:69]
	v_add_f64 v[38:39], v[38:39], v[70:71]
	v_add_f64 v[40:41], v[40:41], v[72:73]
	v_mul_f64 v[58:59], v[58:59], s[4:5]
	v_mul_f64 v[60:61], v[60:61], s[4:5]
	;; [unrolled: 1-line block ×8, first 2 shown]
	v_fma_f64 v[70:71], v[70:71], s[26:27], v[38:39]
	v_fma_f64 v[72:73], v[72:73], s[26:27], v[40:41]
	;; [unrolled: 1-line block ×4, first 2 shown]
	v_fma_f64 v[90:91], v[94:95], s[12:13], -v[90:91]
	v_fma_f64 v[92:93], v[96:97], s[12:13], -v[92:93]
	;; [unrolled: 1-line block ×4, first 2 shown]
	v_fma_f64 v[94:95], v[62:63], s[18:19], v[98:99]
	v_fma_f64 v[96:97], v[64:65], s[18:19], v[100:101]
	v_fma_f64 v[78:79], v[78:79], s[16:17], -v[98:99]
	v_fma_f64 v[80:81], v[80:81], s[16:17], -v[100:101]
	;; [unrolled: 1-line block ×4, first 2 shown]
	v_add_f64 v[98:99], v[74:75], v[70:71]
	v_add_f64 v[100:101], v[76:77], v[72:73]
	;; [unrolled: 1-line block ×6, first 2 shown]
	v_fma_f64 v[96:97], v[68:69], s[24:25], v[96:97]
	v_fma_f64 v[94:95], v[66:67], s[24:25], v[94:95]
	;; [unrolled: 1-line block ×6, first 2 shown]
	v_add_f64 v[34:35], v[84:85], v[86:87]
	v_add_f64 v[36:37], v[88:89], -v[82:83]
	v_add_f64 v[58:59], v[86:87], -v[84:85]
	v_add_f64 v[60:61], v[82:83], v[88:89]
	v_add_f64 v[62:63], v[96:97], v[98:99]
	v_add_f64 v[64:65], v[100:101], -v[94:95]
	v_add_f64 v[66:67], v[102:103], v[90:91]
	v_add_f64 v[68:69], v[92:93], -v[104:105]
	v_add_f64 v[70:71], v[74:75], -v[80:81]
	v_add_f64 v[72:73], v[78:79], v[76:77]
	v_add_f64 v[74:75], v[80:81], v[74:75]
	v_add_f64 v[76:77], v[76:77], -v[78:79]
	v_add_f64 v[78:79], v[90:91], -v[102:103]
	v_add_f64 v[80:81], v[104:105], v[92:93]
	v_add_f64 v[82:83], v[98:99], -v[96:97]
	v_add_f64 v[84:85], v[94:95], v[100:101]
	ds_write_b128 v116, v[2:5]
	ds_write_b128 v116, v[10:13] offset:2688
	ds_write_b128 v116, v[14:17] offset:5376
	;; [unrolled: 1-line block ×20, first 2 shown]
	s_waitcnt lgkmcnt(0)
	; wave barrier
	s_waitcnt lgkmcnt(0)
	ds_read_b128 v[2:5], v116
	ds_read_b128 v[6:9], v116 offset:896
	buffer_load_dword v15, off, s[36:39], 0 offset:316 ; 4-byte Folded Reload
	buffer_load_dword v16, off, s[36:39], 0 offset:320 ; 4-byte Folded Reload
	;; [unrolled: 1-line block ×4, first 2 shown]
	s_waitcnt lgkmcnt(1)
	v_mad_u64_u32 v[12:13], s[2:3], s11, v106, v[1:2]
	v_mov_b32_e32 v1, v12
	v_lshlrev_b64 v[0:1], 4, v[0:1]
	v_add_co_u32_e32 v0, vcc, s6, v0
	s_mul_i32 s6, s9, 0xfffffdec
	s_waitcnt vmcnt(0)
	v_mul_f64 v[10:11], v[17:18], v[4:5]
	v_mul_f64 v[13:14], v[17:18], v[2:3]
	v_fma_f64 v[2:3], v[15:16], v[2:3], v[10:11]
	buffer_load_dword v11, off, s[36:39], 0 offset:40 ; 4-byte Folded Reload
	v_fma_f64 v[4:5], v[15:16], v[4:5], -v[13:14]
	s_waitcnt vmcnt(0)
	v_mad_u64_u32 v[22:23], s[2:3], s8, v11, 0
	s_mov_b32 s2, 0x899406f7
	s_mov_b32 s3, 0x3f4bdd2b
	v_mov_b32_e32 v10, v23
	v_mad_u64_u32 v[18:19], s[4:5], s9, v11, v[10:11]
	ds_read_b128 v[10:13], v116 offset:9408
	v_mul_f64 v[14:15], v[2:3], s[2:3]
	v_mov_b32_e32 v23, v18
	ds_read_b128 v[18:21], v116 offset:10304
	buffer_load_dword v26, off, s[36:39], 0 offset:60 ; 4-byte Folded Reload
	buffer_load_dword v27, off, s[36:39], 0 offset:64 ; 4-byte Folded Reload
	;; [unrolled: 1-line block ×4, first 2 shown]
	v_mul_f64 v[16:17], v[4:5], s[2:3]
	v_mov_b32_e32 v2, s7
	v_addc_co_u32_e32 v2, vcc, v2, v1, vcc
	s_mul_i32 s4, s9, 0x24c
	s_mul_hi_u32 s5, s8, 0x24c
	s_add_i32 s5, s5, s4
	s_mul_i32 s4, s8, 0x24c
	s_lshl_b64 s[4:5], s[4:5], 4
	v_mov_b32_e32 v1, s5
	s_mul_hi_u32 s7, s8, 0xfffffdec
	s_sub_i32 s7, s7, s8
	s_add_i32 s7, s7, s6
	s_mul_i32 s6, s8, 0xfffffdec
	s_lshl_b64 s[6:7], s[6:7], 4
	v_mov_b32_e32 v33, s7
	s_waitcnt vmcnt(0) lgkmcnt(1)
	v_mul_f64 v[3:4], v[28:29], v[12:13]
	v_mul_f64 v[24:25], v[28:29], v[10:11]
	v_fma_f64 v[3:4], v[26:27], v[10:11], v[3:4]
	v_lshlrev_b64 v[10:11], 4, v[22:23]
	v_fma_f64 v[12:13], v[26:27], v[12:13], -v[24:25]
	v_add_co_u32_e32 v22, vcc, v0, v10
	v_addc_co_u32_e32 v23, vcc, v2, v11, vcc
	global_store_dwordx4 v[22:23], v[14:17], off
	buffer_load_dword v24, off, s[36:39], 0 offset:220 ; 4-byte Folded Reload
	buffer_load_dword v25, off, s[36:39], 0 offset:224 ; 4-byte Folded Reload
	;; [unrolled: 1-line block ×4, first 2 shown]
	v_mul_f64 v[10:11], v[3:4], s[2:3]
	v_mul_f64 v[12:13], v[12:13], s[2:3]
	s_waitcnt vmcnt(0)
	v_mul_f64 v[3:4], v[26:27], v[8:9]
	v_mul_f64 v[14:15], v[26:27], v[6:7]
	v_fma_f64 v[3:4], v[24:25], v[6:7], v[3:4]
	v_fma_f64 v[5:6], v[24:25], v[8:9], -v[14:15]
	v_add_co_u32_e32 v15, vcc, s4, v22
	v_addc_co_u32_e32 v16, vcc, v23, v1, vcc
	global_store_dwordx4 v[15:16], v[10:13], off
	buffer_load_dword v22, off, s[36:39], 0 offset:188 ; 4-byte Folded Reload
	buffer_load_dword v23, off, s[36:39], 0 offset:192 ; 4-byte Folded Reload
	;; [unrolled: 1-line block ×4, first 2 shown]
	ds_read_b128 v[7:10], v116 offset:1792
	v_mul_f64 v[3:4], v[3:4], s[2:3]
	v_mul_f64 v[5:6], v[5:6], s[2:3]
	s_waitcnt vmcnt(0) lgkmcnt(1)
	v_mul_f64 v[11:12], v[24:25], v[20:21]
	v_mul_f64 v[13:14], v[24:25], v[18:19]
	v_add_co_u32_e32 v25, vcc, s6, v15
	v_addc_co_u32_e32 v26, vcc, v16, v33, vcc
	v_fma_f64 v[17:18], v[22:23], v[18:19], v[11:12]
	v_fma_f64 v[19:20], v[22:23], v[20:21], -v[13:14]
	ds_read_b128 v[11:14], v116 offset:2688
	buffer_load_dword v27, off, s[36:39], 0 offset:44 ; 4-byte Folded Reload
	buffer_load_dword v28, off, s[36:39], 0 offset:48 ; 4-byte Folded Reload
	;; [unrolled: 1-line block ×4, first 2 shown]
	s_waitcnt vmcnt(0) lgkmcnt(1)
	v_mul_f64 v[21:22], v[29:30], v[9:10]
	v_mul_f64 v[23:24], v[29:30], v[7:8]
	global_store_dwordx4 v[25:26], v[3:6], off
	v_add_co_u32_e32 v25, vcc, s4, v25
	v_mul_f64 v[3:4], v[17:18], s[2:3]
	ds_read_b128 v[15:18], v116 offset:11200
	v_mul_f64 v[5:6], v[19:20], s[2:3]
	v_fma_f64 v[19:20], v[27:28], v[7:8], v[21:22]
	v_fma_f64 v[21:22], v[27:28], v[9:10], -v[23:24]
	ds_read_b128 v[7:10], v116 offset:12096
	buffer_load_dword v29, off, s[36:39], 0 offset:172 ; 4-byte Folded Reload
	buffer_load_dword v30, off, s[36:39], 0 offset:176 ; 4-byte Folded Reload
	;; [unrolled: 1-line block ×4, first 2 shown]
	v_addc_co_u32_e32 v26, vcc, v26, v1, vcc
	global_store_dwordx4 v[25:26], v[3:6], off
	s_nop 0
	v_mul_f64 v[3:4], v[19:20], s[2:3]
	v_mul_f64 v[5:6], v[21:22], s[2:3]
	s_waitcnt vmcnt(1) lgkmcnt(1)
	v_mul_f64 v[23:24], v[31:32], v[17:18]
	v_mul_f64 v[27:28], v[31:32], v[15:16]
	v_fma_f64 v[15:16], v[29:30], v[15:16], v[23:24]
	v_fma_f64 v[17:18], v[29:30], v[17:18], -v[27:28]
	buffer_load_dword v27, off, s[36:39], 0 offset:108 ; 4-byte Folded Reload
	buffer_load_dword v28, off, s[36:39], 0 offset:112 ; 4-byte Folded Reload
	;; [unrolled: 1-line block ×4, first 2 shown]
	v_add_co_u32_e32 v23, vcc, s6, v25
	v_addc_co_u32_e32 v24, vcc, v26, v33, vcc
	global_store_dwordx4 v[23:24], v[3:6], off
	s_waitcnt vmcnt(1)
	v_mul_f64 v[19:20], v[29:30], v[13:14]
	v_mul_f64 v[21:22], v[29:30], v[11:12]
	;; [unrolled: 1-line block ×4, first 2 shown]
	v_fma_f64 v[11:12], v[27:28], v[11:12], v[19:20]
	v_fma_f64 v[15:16], v[27:28], v[13:14], -v[21:22]
	buffer_load_dword v25, off, s[36:39], 0 offset:92 ; 4-byte Folded Reload
	buffer_load_dword v26, off, s[36:39], 0 offset:96 ; 4-byte Folded Reload
	;; [unrolled: 1-line block ×4, first 2 shown]
	v_add_co_u32_e32 v21, vcc, s4, v23
	v_addc_co_u32_e32 v22, vcc, v24, v1, vcc
	global_store_dwordx4 v[21:22], v[3:6], off
	v_add_co_u32_e32 v21, vcc, s6, v21
	v_mul_f64 v[3:4], v[11:12], s[2:3]
	ds_read_b128 v[11:14], v116 offset:3584
	v_mul_f64 v[5:6], v[15:16], s[2:3]
	v_addc_co_u32_e32 v22, vcc, v22, v33, vcc
	s_waitcnt vmcnt(1) lgkmcnt(1)
	v_mul_f64 v[17:18], v[27:28], v[9:10]
	v_mul_f64 v[19:20], v[27:28], v[7:8]
	v_fma_f64 v[15:16], v[25:26], v[7:8], v[17:18]
	v_fma_f64 v[19:20], v[25:26], v[9:10], -v[19:20]
	ds_read_b128 v[7:10], v116 offset:4480
	buffer_load_dword v27, off, s[36:39], 0 offset:156 ; 4-byte Folded Reload
	buffer_load_dword v28, off, s[36:39], 0 offset:160 ; 4-byte Folded Reload
	;; [unrolled: 1-line block ×4, first 2 shown]
	s_waitcnt vmcnt(0) lgkmcnt(1)
	v_mul_f64 v[23:24], v[29:30], v[13:14]
	v_mul_f64 v[25:26], v[29:30], v[11:12]
	global_store_dwordx4 v[21:22], v[3:6], off
	v_add_co_u32_e32 v21, vcc, s4, v21
	v_mul_f64 v[3:4], v[15:16], s[2:3]
	ds_read_b128 v[15:18], v116 offset:12992
	v_mul_f64 v[5:6], v[19:20], s[2:3]
	v_fma_f64 v[19:20], v[27:28], v[11:12], v[23:24]
	v_fma_f64 v[23:24], v[27:28], v[13:14], -v[25:26]
	ds_read_b128 v[11:14], v116 offset:13888
	buffer_load_dword v29, off, s[36:39], 0 offset:300 ; 4-byte Folded Reload
	buffer_load_dword v30, off, s[36:39], 0 offset:304 ; 4-byte Folded Reload
	;; [unrolled: 1-line block ×4, first 2 shown]
	v_addc_co_u32_e32 v22, vcc, v22, v1, vcc
	global_store_dwordx4 v[21:22], v[3:6], off
	s_nop 0
	v_mul_f64 v[3:4], v[19:20], s[2:3]
	v_mul_f64 v[5:6], v[23:24], s[2:3]
	v_add_co_u32_e32 v21, vcc, s6, v21
	v_addc_co_u32_e32 v22, vcc, v22, v33, vcc
	s_waitcnt vmcnt(1) lgkmcnt(1)
	v_mul_f64 v[25:26], v[31:32], v[17:18]
	v_mul_f64 v[27:28], v[31:32], v[15:16]
	v_fma_f64 v[15:16], v[29:30], v[15:16], v[25:26]
	v_fma_f64 v[17:18], v[29:30], v[17:18], -v[27:28]
	buffer_load_dword v25, off, s[36:39], 0 offset:348 ; 4-byte Folded Reload
	buffer_load_dword v26, off, s[36:39], 0 offset:352 ; 4-byte Folded Reload
	;; [unrolled: 1-line block ×4, first 2 shown]
	s_waitcnt vmcnt(0)
	v_mul_f64 v[19:20], v[27:28], v[9:10]
	v_mul_f64 v[23:24], v[27:28], v[7:8]
	global_store_dwordx4 v[21:22], v[3:6], off
	v_add_co_u32_e32 v21, vcc, s4, v21
	v_mul_f64 v[3:4], v[15:16], s[2:3]
	v_mul_f64 v[5:6], v[17:18], s[2:3]
	v_addc_co_u32_e32 v22, vcc, v22, v1, vcc
	v_fma_f64 v[7:8], v[25:26], v[7:8], v[19:20]
	v_fma_f64 v[15:16], v[25:26], v[9:10], -v[23:24]
	buffer_load_dword v23, off, s[36:39], 0 offset:268 ; 4-byte Folded Reload
	buffer_load_dword v24, off, s[36:39], 0 offset:272 ; 4-byte Folded Reload
	;; [unrolled: 1-line block ×4, first 2 shown]
	s_waitcnt vmcnt(0) lgkmcnt(0)
	v_mul_f64 v[17:18], v[25:26], v[13:14]
	v_mul_f64 v[19:20], v[25:26], v[11:12]
	global_store_dwordx4 v[21:22], v[3:6], off
	v_add_co_u32_e32 v21, vcc, s6, v21
	v_mul_f64 v[3:4], v[7:8], s[2:3]
	ds_read_b128 v[7:10], v116 offset:5376
	v_mul_f64 v[5:6], v[15:16], s[2:3]
	v_fma_f64 v[15:16], v[23:24], v[11:12], v[17:18]
	v_fma_f64 v[19:20], v[23:24], v[13:14], -v[19:20]
	ds_read_b128 v[11:14], v116 offset:6272
	buffer_load_dword v27, off, s[36:39], 0 offset:124 ; 4-byte Folded Reload
	buffer_load_dword v28, off, s[36:39], 0 offset:128 ; 4-byte Folded Reload
	;; [unrolled: 1-line block ×4, first 2 shown]
	v_addc_co_u32_e32 v22, vcc, v22, v33, vcc
	global_store_dwordx4 v[21:22], v[3:6], off
	s_nop 0
	v_mul_f64 v[3:4], v[15:16], s[2:3]
	ds_read_b128 v[15:18], v116 offset:14784
	v_mul_f64 v[5:6], v[19:20], s[2:3]
	v_add_co_u32_e32 v21, vcc, s4, v21
	v_addc_co_u32_e32 v22, vcc, v22, v1, vcc
	s_waitcnt vmcnt(1) lgkmcnt(2)
	v_mul_f64 v[23:24], v[29:30], v[9:10]
	v_mul_f64 v[25:26], v[29:30], v[7:8]
	v_fma_f64 v[19:20], v[27:28], v[7:8], v[23:24]
	v_fma_f64 v[23:24], v[27:28], v[9:10], -v[25:26]
	ds_read_b128 v[7:10], v116 offset:15680
	buffer_load_dword v29, off, s[36:39], 0 offset:332 ; 4-byte Folded Reload
	buffer_load_dword v30, off, s[36:39], 0 offset:336 ; 4-byte Folded Reload
	;; [unrolled: 1-line block ×4, first 2 shown]
	s_waitcnt vmcnt(0) lgkmcnt(1)
	v_mul_f64 v[25:26], v[31:32], v[17:18]
	v_mul_f64 v[27:28], v[31:32], v[15:16]
	global_store_dwordx4 v[21:22], v[3:6], off
	v_add_co_u32_e32 v21, vcc, s6, v21
	v_mul_f64 v[3:4], v[19:20], s[2:3]
	v_mul_f64 v[5:6], v[23:24], s[2:3]
	v_addc_co_u32_e32 v22, vcc, v22, v33, vcc
	v_fma_f64 v[15:16], v[29:30], v[15:16], v[25:26]
	v_fma_f64 v[17:18], v[29:30], v[17:18], -v[27:28]
	buffer_load_dword v25, off, s[36:39], 0 offset:204 ; 4-byte Folded Reload
	buffer_load_dword v26, off, s[36:39], 0 offset:208 ; 4-byte Folded Reload
	;; [unrolled: 1-line block ×4, first 2 shown]
	s_waitcnt vmcnt(0)
	v_mul_f64 v[19:20], v[27:28], v[13:14]
	v_mul_f64 v[23:24], v[27:28], v[11:12]
	global_store_dwordx4 v[21:22], v[3:6], off
	v_fma_f64 v[11:12], v[25:26], v[11:12], v[19:20]
	v_fma_f64 v[13:14], v[25:26], v[13:14], -v[23:24]
	buffer_load_dword v23, off, s[36:39], 0 offset:284 ; 4-byte Folded Reload
	buffer_load_dword v24, off, s[36:39], 0 offset:288 ; 4-byte Folded Reload
	;; [unrolled: 1-line block ×4, first 2 shown]
	v_mul_f64 v[3:4], v[15:16], s[2:3]
	v_mul_f64 v[5:6], v[17:18], s[2:3]
	v_add_co_u32_e32 v19, vcc, s4, v21
	v_addc_co_u32_e32 v20, vcc, v22, v1, vcc
	global_store_dwordx4 v[19:20], v[3:6], off
	s_nop 0
	v_mul_f64 v[3:4], v[11:12], s[2:3]
	v_mul_f64 v[5:6], v[13:14], s[2:3]
	s_waitcnt vmcnt(1) lgkmcnt(0)
	v_mul_f64 v[15:16], v[25:26], v[9:10]
	v_mul_f64 v[17:18], v[25:26], v[7:8]
	v_fma_f64 v[11:12], v[23:24], v[7:8], v[15:16]
	v_fma_f64 v[13:14], v[23:24], v[9:10], -v[17:18]
	v_add_co_u32_e32 v15, vcc, s6, v19
	v_addc_co_u32_e32 v16, vcc, v20, v33, vcc
	global_store_dwordx4 v[15:16], v[3:6], off
	ds_read_b128 v[7:10], v116 offset:7168
	v_mul_f64 v[3:4], v[11:12], s[2:3]
	v_mul_f64 v[5:6], v[13:14], s[2:3]
	ds_read_b128 v[11:14], v116 offset:8064
	buffer_load_dword v27, off, s[36:39], 0 offset:236 ; 4-byte Folded Reload
	buffer_load_dword v28, off, s[36:39], 0 offset:240 ; 4-byte Folded Reload
	;; [unrolled: 1-line block ×4, first 2 shown]
	v_add_co_u32_e32 v23, vcc, s4, v15
	v_addc_co_u32_e32 v24, vcc, v16, v1, vcc
	buffer_load_dword v31, off, s[36:39], 0 offset:36 ; 4-byte Folded Reload
	ds_read_b128 v[15:18], v116 offset:16576
	s_waitcnt vmcnt(1) lgkmcnt(2)
	v_mul_f64 v[19:20], v[29:30], v[9:10]
	v_mul_f64 v[21:22], v[29:30], v[7:8]
	s_waitcnt vmcnt(0)
	v_mad_u64_u32 v[25:26], s[10:11], s8, v31, 0
	v_fma_f64 v[19:20], v[27:28], v[7:8], v[19:20]
	v_fma_f64 v[21:22], v[27:28], v[9:10], -v[21:22]
	ds_read_b128 v[7:10], v116 offset:17472
	buffer_load_dword v34, off, s[36:39], 0 offset:76 ; 4-byte Folded Reload
	buffer_load_dword v35, off, s[36:39], 0 offset:80 ; 4-byte Folded Reload
	;; [unrolled: 1-line block ×4, first 2 shown]
	s_waitcnt vmcnt(0) lgkmcnt(1)
	v_mul_f64 v[27:28], v[36:37], v[17:18]
	v_mul_f64 v[29:30], v[36:37], v[15:16]
	global_store_dwordx4 v[23:24], v[3:6], off
	v_fma_f64 v[15:16], v[34:35], v[15:16], v[27:28]
	v_fma_f64 v[17:18], v[34:35], v[17:18], -v[29:30]
	buffer_load_dword v34, off, s[36:39], 0 offset:140 ; 4-byte Folded Reload
	buffer_load_dword v35, off, s[36:39], 0 offset:144 ; 4-byte Folded Reload
	buffer_load_dword v36, off, s[36:39], 0 offset:148 ; 4-byte Folded Reload
	buffer_load_dword v37, off, s[36:39], 0 offset:152 ; 4-byte Folded Reload
	v_mad_u64_u32 v[31:32], s[10:11], s9, v31, v[26:27]
	v_mul_f64 v[3:4], v[19:20], s[2:3]
	v_mul_f64 v[5:6], v[21:22], s[2:3]
	v_mov_b32_e32 v26, v31
	v_lshlrev_b64 v[19:20], 4, v[25:26]
	v_mul_f64 v[15:16], v[15:16], s[2:3]
	v_add_co_u32_e32 v19, vcc, v0, v19
	v_addc_co_u32_e32 v20, vcc, v2, v20, vcc
	v_mov_b32_e32 v0, 0x380
	v_mul_f64 v[17:18], v[17:18], s[2:3]
	s_waitcnt vmcnt(0)
	v_mul_f64 v[21:22], v[36:37], v[13:14]
	v_mul_f64 v[25:26], v[36:37], v[11:12]
	buffer_load_dword v36, off, s[36:39], 0 offset:252 ; 4-byte Folded Reload
	buffer_load_dword v37, off, s[36:39], 0 offset:256 ; 4-byte Folded Reload
	;; [unrolled: 1-line block ×4, first 2 shown]
	v_fma_f64 v[11:12], v[34:35], v[11:12], v[21:22]
	v_fma_f64 v[13:14], v[34:35], v[13:14], -v[25:26]
	v_mad_u64_u32 v[21:22], s[10:11], s8, v0, v[23:24]
	global_store_dwordx4 v[19:20], v[3:6], off
	s_mul_i32 s8, s9, 0x380
	v_add_u32_e32 v22, s8, v22
	global_store_dwordx4 v[21:22], v[15:18], off
	v_mul_f64 v[2:3], v[11:12], s[2:3]
	v_mul_f64 v[4:5], v[13:14], s[2:3]
	s_waitcnt vmcnt(2) lgkmcnt(0)
	v_mul_f64 v[27:28], v[38:39], v[9:10]
	v_mul_f64 v[29:30], v[38:39], v[7:8]
	v_fma_f64 v[7:8], v[36:37], v[7:8], v[27:28]
	v_fma_f64 v[9:10], v[36:37], v[9:10], -v[29:30]
	v_mul_f64 v[6:7], v[7:8], s[2:3]
	v_mul_f64 v[8:9], v[9:10], s[2:3]
	v_add_co_u32_e32 v10, vcc, s6, v21
	v_addc_co_u32_e32 v11, vcc, v22, v33, vcc
	v_add_co_u32_e32 v0, vcc, s4, v10
	v_addc_co_u32_e32 v1, vcc, v11, v1, vcc
	global_store_dwordx4 v[10:11], v[2:5], off
	global_store_dwordx4 v[0:1], v[6:9], off
	s_and_b64 exec, exec, s[0:1]
	s_cbranch_execz .LBB0_31
; %bb.30:
	buffer_load_dword v16, off, s[36:39], 0 offset:20 ; 4-byte Folded Reload
	buffer_load_dword v17, off, s[36:39], 0 offset:24 ; 4-byte Folded Reload
	s_movk_i32 s0, 0x4000
	s_waitcnt vmcnt(1)
	v_add_co_u32_e32 v2, vcc, 0x2000, v16
	s_waitcnt vmcnt(0)
	v_addc_co_u32_e32 v3, vcc, 0, v17, vcc
	global_load_dwordx4 v[2:5], v[2:3], off offset:768
	ds_read_b128 v[6:9], v116 offset:8960
	ds_read_b128 v[10:13], v116 offset:18368
	s_waitcnt vmcnt(0) lgkmcnt(1)
	v_mul_f64 v[14:15], v[8:9], v[4:5]
	v_mul_f64 v[4:5], v[6:7], v[4:5]
	v_fma_f64 v[6:7], v[6:7], v[2:3], v[14:15]
	v_fma_f64 v[4:5], v[2:3], v[8:9], -v[4:5]
	v_mov_b32_e32 v8, s7
	v_mul_f64 v[2:3], v[6:7], s[2:3]
	v_mul_f64 v[4:5], v[4:5], s[2:3]
	v_add_co_u32_e32 v6, vcc, s6, v0
	v_addc_co_u32_e32 v7, vcc, v1, v8, vcc
	v_add_co_u32_e32 v0, vcc, s0, v16
	v_addc_co_u32_e32 v1, vcc, 0, v17, vcc
	global_store_dwordx4 v[6:7], v[2:5], off
	global_load_dwordx4 v[0:3], v[0:1], off offset:1984
	s_waitcnt vmcnt(0) lgkmcnt(0)
	v_mul_f64 v[4:5], v[12:13], v[2:3]
	v_mul_f64 v[2:3], v[10:11], v[2:3]
	v_fma_f64 v[4:5], v[10:11], v[0:1], v[4:5]
	v_fma_f64 v[2:3], v[0:1], v[12:13], -v[2:3]
	v_mul_f64 v[0:1], v[4:5], s[2:3]
	v_mul_f64 v[2:3], v[2:3], s[2:3]
	v_mov_b32_e32 v5, s5
	v_add_co_u32_e32 v4, vcc, s4, v6
	v_addc_co_u32_e32 v5, vcc, v7, v5, vcc
	global_store_dwordx4 v[4:5], v[0:3], off
.LBB0_31:
	s_endpgm
	.section	.rodata,"a",@progbits
	.p2align	6, 0x0
	.amdhsa_kernel bluestein_single_back_len1176_dim1_dp_op_CI_CI
		.amdhsa_group_segment_fixed_size 18816
		.amdhsa_private_segment_fixed_size 620
		.amdhsa_kernarg_size 104
		.amdhsa_user_sgpr_count 6
		.amdhsa_user_sgpr_private_segment_buffer 1
		.amdhsa_user_sgpr_dispatch_ptr 0
		.amdhsa_user_sgpr_queue_ptr 0
		.amdhsa_user_sgpr_kernarg_segment_ptr 1
		.amdhsa_user_sgpr_dispatch_id 0
		.amdhsa_user_sgpr_flat_scratch_init 0
		.amdhsa_user_sgpr_private_segment_size 0
		.amdhsa_uses_dynamic_stack 0
		.amdhsa_system_sgpr_private_segment_wavefront_offset 1
		.amdhsa_system_sgpr_workgroup_id_x 1
		.amdhsa_system_sgpr_workgroup_id_y 0
		.amdhsa_system_sgpr_workgroup_id_z 0
		.amdhsa_system_sgpr_workgroup_info 0
		.amdhsa_system_vgpr_workitem_id 0
		.amdhsa_next_free_vgpr 256
		.amdhsa_next_free_sgpr 40
		.amdhsa_reserve_vcc 1
		.amdhsa_reserve_flat_scratch 0
		.amdhsa_float_round_mode_32 0
		.amdhsa_float_round_mode_16_64 0
		.amdhsa_float_denorm_mode_32 3
		.amdhsa_float_denorm_mode_16_64 3
		.amdhsa_dx10_clamp 1
		.amdhsa_ieee_mode 1
		.amdhsa_fp16_overflow 0
		.amdhsa_exception_fp_ieee_invalid_op 0
		.amdhsa_exception_fp_denorm_src 0
		.amdhsa_exception_fp_ieee_div_zero 0
		.amdhsa_exception_fp_ieee_overflow 0
		.amdhsa_exception_fp_ieee_underflow 0
		.amdhsa_exception_fp_ieee_inexact 0
		.amdhsa_exception_int_div_zero 0
	.end_amdhsa_kernel
	.text
.Lfunc_end0:
	.size	bluestein_single_back_len1176_dim1_dp_op_CI_CI, .Lfunc_end0-bluestein_single_back_len1176_dim1_dp_op_CI_CI
                                        ; -- End function
	.section	.AMDGPU.csdata,"",@progbits
; Kernel info:
; codeLenInByte = 30496
; NumSgprs: 44
; NumVgprs: 256
; ScratchSize: 620
; MemoryBound: 0
; FloatMode: 240
; IeeeMode: 1
; LDSByteSize: 18816 bytes/workgroup (compile time only)
; SGPRBlocks: 5
; VGPRBlocks: 63
; NumSGPRsForWavesPerEU: 44
; NumVGPRsForWavesPerEU: 256
; Occupancy: 1
; WaveLimiterHint : 1
; COMPUTE_PGM_RSRC2:SCRATCH_EN: 1
; COMPUTE_PGM_RSRC2:USER_SGPR: 6
; COMPUTE_PGM_RSRC2:TRAP_HANDLER: 0
; COMPUTE_PGM_RSRC2:TGID_X_EN: 1
; COMPUTE_PGM_RSRC2:TGID_Y_EN: 0
; COMPUTE_PGM_RSRC2:TGID_Z_EN: 0
; COMPUTE_PGM_RSRC2:TIDIG_COMP_CNT: 0
	.type	__hip_cuid_5f3c9770bb9290f5,@object ; @__hip_cuid_5f3c9770bb9290f5
	.section	.bss,"aw",@nobits
	.globl	__hip_cuid_5f3c9770bb9290f5
__hip_cuid_5f3c9770bb9290f5:
	.byte	0                               ; 0x0
	.size	__hip_cuid_5f3c9770bb9290f5, 1

	.ident	"AMD clang version 19.0.0git (https://github.com/RadeonOpenCompute/llvm-project roc-6.4.0 25133 c7fe45cf4b819c5991fe208aaa96edf142730f1d)"
	.section	".note.GNU-stack","",@progbits
	.addrsig
	.addrsig_sym __hip_cuid_5f3c9770bb9290f5
	.amdgpu_metadata
---
amdhsa.kernels:
  - .args:
      - .actual_access:  read_only
        .address_space:  global
        .offset:         0
        .size:           8
        .value_kind:     global_buffer
      - .actual_access:  read_only
        .address_space:  global
        .offset:         8
        .size:           8
        .value_kind:     global_buffer
      - .actual_access:  read_only
        .address_space:  global
        .offset:         16
        .size:           8
        .value_kind:     global_buffer
      - .actual_access:  read_only
        .address_space:  global
        .offset:         24
        .size:           8
        .value_kind:     global_buffer
      - .actual_access:  read_only
        .address_space:  global
        .offset:         32
        .size:           8
        .value_kind:     global_buffer
      - .offset:         40
        .size:           8
        .value_kind:     by_value
      - .address_space:  global
        .offset:         48
        .size:           8
        .value_kind:     global_buffer
      - .address_space:  global
        .offset:         56
        .size:           8
        .value_kind:     global_buffer
      - .address_space:  global
        .offset:         64
        .size:           8
        .value_kind:     global_buffer
      - .address_space:  global
        .offset:         72
        .size:           8
        .value_kind:     global_buffer
      - .offset:         80
        .size:           4
        .value_kind:     by_value
      - .address_space:  global
        .offset:         88
        .size:           8
        .value_kind:     global_buffer
      - .address_space:  global
        .offset:         96
        .size:           8
        .value_kind:     global_buffer
    .group_segment_fixed_size: 18816
    .kernarg_segment_align: 8
    .kernarg_segment_size: 104
    .language:       OpenCL C
    .language_version:
      - 2
      - 0
    .max_flat_workgroup_size: 56
    .name:           bluestein_single_back_len1176_dim1_dp_op_CI_CI
    .private_segment_fixed_size: 620
    .sgpr_count:     44
    .sgpr_spill_count: 0
    .symbol:         bluestein_single_back_len1176_dim1_dp_op_CI_CI.kd
    .uniform_work_group_size: 1
    .uses_dynamic_stack: false
    .vgpr_count:     256
    .vgpr_spill_count: 158
    .wavefront_size: 64
amdhsa.target:   amdgcn-amd-amdhsa--gfx906
amdhsa.version:
  - 1
  - 2
...

	.end_amdgpu_metadata
